;; amdgpu-corpus repo=zjin-lcf/HeCBench kind=compiled arch=gfx1250 opt=O3
	.amdgcn_target "amdgcn-amd-amdhsa--gfx1250"
	.amdhsa_code_object_version 6
	.text
	.protected	_Z10comm_emptyP15HIP_vector_typeIfLj2EES1_S1_ ; -- Begin function _Z10comm_emptyP15HIP_vector_typeIfLj2EES1_S1_
	.globl	_Z10comm_emptyP15HIP_vector_typeIfLj2EES1_S1_
	.p2align	8
	.type	_Z10comm_emptyP15HIP_vector_typeIfLj2EES1_S1_,@function
_Z10comm_emptyP15HIP_vector_typeIfLj2EES1_S1_: ; @_Z10comm_emptyP15HIP_vector_typeIfLj2EES1_S1_
; %bb.0:
	s_endpgm
	.section	.rodata,"a",@progbits
	.p2align	6, 0x0
	.amdhsa_kernel _Z10comm_emptyP15HIP_vector_typeIfLj2EES1_S1_
		.amdhsa_group_segment_fixed_size 0
		.amdhsa_private_segment_fixed_size 0
		.amdhsa_kernarg_size 24
		.amdhsa_user_sgpr_count 2
		.amdhsa_user_sgpr_dispatch_ptr 0
		.amdhsa_user_sgpr_queue_ptr 0
		.amdhsa_user_sgpr_kernarg_segment_ptr 1
		.amdhsa_user_sgpr_dispatch_id 0
		.amdhsa_user_sgpr_kernarg_preload_length 0
		.amdhsa_user_sgpr_kernarg_preload_offset 0
		.amdhsa_user_sgpr_private_segment_size 0
		.amdhsa_wavefront_size32 1
		.amdhsa_uses_dynamic_stack 0
		.amdhsa_enable_private_segment 0
		.amdhsa_system_sgpr_workgroup_id_x 1
		.amdhsa_system_sgpr_workgroup_id_y 0
		.amdhsa_system_sgpr_workgroup_id_z 0
		.amdhsa_system_sgpr_workgroup_info 0
		.amdhsa_system_vgpr_workitem_id 0
		.amdhsa_next_free_vgpr 1
		.amdhsa_next_free_sgpr 1
		.amdhsa_named_barrier_count 0
		.amdhsa_reserve_vcc 0
		.amdhsa_float_round_mode_32 0
		.amdhsa_float_round_mode_16_64 0
		.amdhsa_float_denorm_mode_32 3
		.amdhsa_float_denorm_mode_16_64 3
		.amdhsa_fp16_overflow 0
		.amdhsa_memory_ordered 1
		.amdhsa_forward_progress 1
		.amdhsa_inst_pref_size 1
		.amdhsa_round_robin_scheduling 0
		.amdhsa_exception_fp_ieee_invalid_op 0
		.amdhsa_exception_fp_denorm_src 0
		.amdhsa_exception_fp_ieee_div_zero 0
		.amdhsa_exception_fp_ieee_overflow 0
		.amdhsa_exception_fp_ieee_underflow 0
		.amdhsa_exception_fp_ieee_inexact 0
		.amdhsa_exception_int_div_zero 0
	.end_amdhsa_kernel
	.text
.Lfunc_end0:
	.size	_Z10comm_emptyP15HIP_vector_typeIfLj2EES1_S1_, .Lfunc_end0-_Z10comm_emptyP15HIP_vector_typeIfLj2EES1_S1_
                                        ; -- End function
	.set _Z10comm_emptyP15HIP_vector_typeIfLj2EES1_S1_.num_vgpr, 0
	.set _Z10comm_emptyP15HIP_vector_typeIfLj2EES1_S1_.num_agpr, 0
	.set _Z10comm_emptyP15HIP_vector_typeIfLj2EES1_S1_.numbered_sgpr, 0
	.set _Z10comm_emptyP15HIP_vector_typeIfLj2EES1_S1_.num_named_barrier, 0
	.set _Z10comm_emptyP15HIP_vector_typeIfLj2EES1_S1_.private_seg_size, 0
	.set _Z10comm_emptyP15HIP_vector_typeIfLj2EES1_S1_.uses_vcc, 0
	.set _Z10comm_emptyP15HIP_vector_typeIfLj2EES1_S1_.uses_flat_scratch, 0
	.set _Z10comm_emptyP15HIP_vector_typeIfLj2EES1_S1_.has_dyn_sized_stack, 0
	.set _Z10comm_emptyP15HIP_vector_typeIfLj2EES1_S1_.has_recursion, 0
	.set _Z10comm_emptyP15HIP_vector_typeIfLj2EES1_S1_.has_indirect_call, 0
	.section	.AMDGPU.csdata,"",@progbits
; Kernel info:
; codeLenInByte = 4
; TotalNumSgprs: 0
; NumVgprs: 0
; ScratchSize: 0
; MemoryBound: 0
; FloatMode: 240
; IeeeMode: 1
; LDSByteSize: 0 bytes/workgroup (compile time only)
; SGPRBlocks: 0
; VGPRBlocks: 0
; NumSGPRsForWavesPerEU: 1
; NumVGPRsForWavesPerEU: 1
; NamedBarCnt: 0
; Occupancy: 16
; WaveLimiterHint : 0
; COMPUTE_PGM_RSRC2:SCRATCH_EN: 0
; COMPUTE_PGM_RSRC2:USER_SGPR: 2
; COMPUTE_PGM_RSRC2:TRAP_HANDLER: 0
; COMPUTE_PGM_RSRC2:TGID_X_EN: 1
; COMPUTE_PGM_RSRC2:TGID_Y_EN: 0
; COMPUTE_PGM_RSRC2:TGID_Z_EN: 0
; COMPUTE_PGM_RSRC2:TIDIG_COMP_CNT: 0
	.text
	.protected	_Z9comm_initPK15HIP_vector_typeIfLj2EEPS0_S2_i ; -- Begin function _Z9comm_initPK15HIP_vector_typeIfLj2EEPS0_S2_i
	.globl	_Z9comm_initPK15HIP_vector_typeIfLj2EEPS0_S2_i
	.p2align	8
	.type	_Z9comm_initPK15HIP_vector_typeIfLj2EEPS0_S2_i,@function
_Z9comm_initPK15HIP_vector_typeIfLj2EEPS0_S2_i: ; @_Z9comm_initPK15HIP_vector_typeIfLj2EEPS0_S2_i
; %bb.0:
	s_load_b32 s4, s[0:1], 0x18
	s_wait_kmcnt 0x0
	s_cmp_lt_i32 s4, 1
	s_cbranch_scc1 .LBB1_7
; %bb.1:
	v_s_sqrt_f32 s2, 0
	s_load_b32 s3, s[0:1], 0x2c
	s_and_b32 s5, ttmp6, 15
	s_getreg_b32 s6, hwreg(HW_REG_IB_STS2, 6, 4)
	s_delay_alu instid0(TRANS32_DEP_1) | instskip(NEXT) | instid1(SALU_CYCLE_3)
	s_fmamk_f32 s2, s2, 0x0, s2
	s_add_f32 s2, s2, s2
	s_delay_alu instid0(SALU_CYCLE_3) | instskip(SKIP_1) | instid1(SALU_CYCLE_2)
	s_sub_f32 s2, 0x40490fdb, s2
	v_nop
	v_div_scale_f32 v1, null, s2, s2, 1.0
	v_div_scale_f32 v4, vcc_lo, 1.0, s2, 1.0
	s_delay_alu instid0(VALU_DEP_2)
	v_rcp_f32_e32 v2, v1
	v_nop
	v_xor_b32_e32 v1, 0x80000000, v1
	s_delay_alu instid0(TRANS32_DEP_1) | instid1(VALU_DEP_1)
	v_fma_f32 v3, v1, v2, 1.0
	s_delay_alu instid0(VALU_DEP_1) | instskip(NEXT) | instid1(VALU_DEP_1)
	v_fmac_f32_e32 v2, v3, v2
	v_mul_f32_e32 v3, v4, v2
	s_delay_alu instid0(VALU_DEP_1) | instskip(NEXT) | instid1(VALU_DEP_1)
	v_fma_f32 v5, v1, v3, v4
	v_fmac_f32_e32 v3, v5, v2
	s_delay_alu instid0(VALU_DEP_1) | instskip(NEXT) | instid1(VALU_DEP_1)
	v_fmac_f32_e32 v4, v1, v3
	v_div_fmas_f32 v1, v4, v2, v3
	s_delay_alu instid0(VALU_DEP_1) | instskip(SKIP_1) | instid1(SALU_CYCLE_1)
	v_div_fixup_f32 v1, v1, s2, 1.0
	s_bfe_u32 s2, ttmp6, 0x4000c
	s_add_co_i32 s2, s2, 1
	s_delay_alu instid0(SALU_CYCLE_1) | instskip(NEXT) | instid1(VALU_DEP_1)
	s_mul_i32 s2, ttmp9, s2
	v_div_scale_f32 v2, null, v1, v1, 0x3a83126f
	s_add_co_i32 s5, s5, s2
	s_wait_kmcnt 0x0
	s_and_b32 s2, s3, 0xffff
	s_cmp_eq_u32 s6, 0
	v_rcp_f32_e32 v3, v2
	v_nop
	v_xor_b32_e32 v2, 0x80000000, v2
	s_cselect_b32 s3, ttmp9, s5
	v_div_scale_f32 v5, vcc_lo, 0x3a83126f, v1, 0x3a83126f
	v_mad_u32 v0, s3, s2, v0
	s_load_b64 s[6:7], s[0:1], 0x10
	v_fma_f32 v4, v2, v3, 1.0
	s_wait_xcnt 0x0
	s_load_b128 s[0:3], s[0:1], 0x0
	s_mov_b32 s5, 0
	s_delay_alu instid0(SALU_CYCLE_1) | instskip(SKIP_1) | instid1(VALU_DEP_3)
	s_lshl_b64 s[8:9], s[4:5], 3
	v_fmac_f32_e32 v3, v4, v3
	v_mul_lo_u32 v6, v0, s4
	s_delay_alu instid0(VALU_DEP_2) | instskip(NEXT) | instid1(VALU_DEP_1)
	v_mul_f32_e32 v4, v5, v3
	v_fma_f32 v7, v2, v4, v5
	s_wait_kmcnt 0x0
	s_add_nc_u64 s[10:11], s[6:7], 4
	s_delay_alu instid0(VALU_DEP_1) | instskip(NEXT) | instid1(VALU_DEP_4)
	v_fmac_f32_e32 v4, v7, v3
	v_mul_lo_u32 v7, v6, s4
	s_delay_alu instid0(VALU_DEP_1) | instskip(NEXT) | instid1(VALU_DEP_1)
	v_dual_fmac_f32 v5, v2, v4 :: v_dual_mov_b32 v8, v7
	v_div_fmas_f32 v0, v5, v3, v4
	s_delay_alu instid0(VALU_DEP_1) | instskip(NEXT) | instid1(VALU_DEP_1)
	v_div_fixup_f32 v0, v0, v1, 0x3a83126f
	v_mov_b32_e32 v1, v0
.LBB1_2:                                ; =>This Loop Header: Depth=1
                                        ;     Child Loop BB1_3 Depth 2
                                        ;       Child Loop BB1_4 Depth 3
	s_wait_xcnt 0x0
	v_dual_add_nc_u32 v2, s5, v6 :: v_dual_mov_b32 v10, v7
	s_mov_b64 s[12:13], s[6:7]
	s_mov_b32 s18, 0
	s_delay_alu instid0(VALU_DEP_1)
	v_mul_lo_u32 v9, v2, s4
.LBB1_3:                                ;   Parent Loop BB1_2 Depth=1
                                        ; =>  This Loop Header: Depth=2
                                        ;       Child Loop BB1_4 Depth 3
	s_wait_xcnt 0x0
	v_dual_mov_b32 v2, 0 :: v_dual_mov_b32 v11, v10
	s_mov_b32 s19, 0
	s_mov_b64 s[14:15], s[10:11]
	s_mov_b64 s[16:17], s[12:13]
	s_delay_alu instid0(VALU_DEP_1)
	v_mov_b32_e32 v3, v2
.LBB1_4:                                ;   Parent Loop BB1_2 Depth=1
                                        ;     Parent Loop BB1_3 Depth=2
                                        ; =>    This Inner Loop Header: Depth=3
	v_add_nc_u32_e32 v14, s19, v8
	s_add_nc_u64 s[22:23], s[14:15], -4
	s_add_co_i32 s19, s19, 1
	s_add_nc_u64 s[14:15], s[14:15], 8
	s_cmp_eq_u32 s4, s19
	s_clause 0x1
	global_load_b64 v[4:5], v14, s[0:1] scale_offset
	global_load_b64 v[12:13], v11, s[0:1] scale_offset
	s_load_b64 s[20:21], s[16:17], 0x0
	v_add_nc_u32_e32 v11, s4, v11
	s_load_b64 s[22:23], s[22:23], 0x0
	s_wait_xcnt 0x0
	s_add_nc_u64 s[16:17], s[16:17], s[8:9]
	s_wait_kmcnt 0x0
	v_mov_b64_e32 v[14:15], s[20:21]
	v_mov_b64_e32 v[18:19], s[22:23]
	s_wait_loadcnt 0x1
	s_delay_alu instid0(VALU_DEP_2) | instskip(SKIP_2) | instid1(VALU_DEP_2)
	v_pk_mul_f32 v[16:17], v[4:5], v[14:15] op_sel_hi:[0,1]
	v_pk_mul_f32 v[4:5], v[4:5], v[14:15] op_sel:[1,0]
	s_wait_loadcnt 0x0
	v_pk_fma_f32 v[14:15], s[22:23], v[12:13], v[16:17] op_sel_hi:[0,1,1] neg_lo:[0,0,1] neg_hi:[0,0,1]
	s_delay_alu instid0(VALU_DEP_2) | instskip(NEXT) | instid1(VALU_DEP_2)
	v_pk_fma_f32 v[12:13], v[18:19], v[12:13], v[4:5] op_sel:[1,0,0] neg_lo:[0,0,1] neg_hi:[0,0,1]
	v_pk_add_f32 v[2:3], v[2:3], v[14:15] op_sel:[0,1] op_sel_hi:[1,0]
	s_delay_alu instid0(VALU_DEP_1) | instskip(SKIP_1) | instid1(VALU_DEP_2)
	v_pk_add_f32 v[4:5], v[2:3], v[12:13] neg_lo:[0,1] neg_hi:[0,1]
	v_pk_add_f32 v[2:3], v[2:3], v[12:13]
	v_mov_b32_e32 v3, v5
	s_cbranch_scc0 .LBB1_4
; %bb.5:                                ;   in Loop: Header=BB1_3 Depth=2
	v_dual_add_nc_u32 v11, s18, v9 :: v_dual_mov_b32 v3, v5
	s_add_co_i32 s18, s18, 1
	s_add_nc_u64 s[12:13], s[12:13], 8
	s_cmp_eq_u32 s18, s4
	global_load_b64 v[12:13], v11, s[2:3] scale_offset
	v_add_nc_u32_e32 v10, 1, v10
	s_wait_loadcnt 0x0
	v_pk_fma_f32 v[4:5], v[0:1], v[2:3], v[12:13] neg_lo:[1,0,0] neg_hi:[1,0,0]
	v_pk_fma_f32 v[2:3], v[0:1], v[2:3], v[12:13]
	s_delay_alu instid0(VALU_DEP_2)
	v_mov_b32_e32 v3, v5
	global_store_b64 v11, v[2:3], s[2:3] scale_offset
	s_cbranch_scc0 .LBB1_3
; %bb.6:                                ;   in Loop: Header=BB1_2 Depth=1
	v_add_nc_u32_e32 v8, s4, v8
	s_add_co_i32 s5, s5, 1
	s_add_nc_u64 s[10:11], s[10:11], s[8:9]
	s_cmp_eq_u32 s5, s4
	s_cbranch_scc0 .LBB1_2
.LBB1_7:
	s_endpgm
	.section	.rodata,"a",@progbits
	.p2align	6, 0x0
	.amdhsa_kernel _Z9comm_initPK15HIP_vector_typeIfLj2EEPS0_S2_i
		.amdhsa_group_segment_fixed_size 0
		.amdhsa_private_segment_fixed_size 0
		.amdhsa_kernarg_size 288
		.amdhsa_user_sgpr_count 2
		.amdhsa_user_sgpr_dispatch_ptr 0
		.amdhsa_user_sgpr_queue_ptr 0
		.amdhsa_user_sgpr_kernarg_segment_ptr 1
		.amdhsa_user_sgpr_dispatch_id 0
		.amdhsa_user_sgpr_kernarg_preload_length 0
		.amdhsa_user_sgpr_kernarg_preload_offset 0
		.amdhsa_user_sgpr_private_segment_size 0
		.amdhsa_wavefront_size32 1
		.amdhsa_uses_dynamic_stack 0
		.amdhsa_enable_private_segment 0
		.amdhsa_system_sgpr_workgroup_id_x 1
		.amdhsa_system_sgpr_workgroup_id_y 0
		.amdhsa_system_sgpr_workgroup_id_z 0
		.amdhsa_system_sgpr_workgroup_info 0
		.amdhsa_system_vgpr_workitem_id 0
		.amdhsa_next_free_vgpr 20
		.amdhsa_next_free_sgpr 24
		.amdhsa_named_barrier_count 0
		.amdhsa_reserve_vcc 1
		.amdhsa_float_round_mode_32 0
		.amdhsa_float_round_mode_16_64 0
		.amdhsa_float_denorm_mode_32 3
		.amdhsa_float_denorm_mode_16_64 3
		.amdhsa_fp16_overflow 0
		.amdhsa_memory_ordered 1
		.amdhsa_forward_progress 1
		.amdhsa_inst_pref_size 6
		.amdhsa_round_robin_scheduling 0
		.amdhsa_exception_fp_ieee_invalid_op 0
		.amdhsa_exception_fp_denorm_src 0
		.amdhsa_exception_fp_ieee_div_zero 0
		.amdhsa_exception_fp_ieee_overflow 0
		.amdhsa_exception_fp_ieee_underflow 0
		.amdhsa_exception_fp_ieee_inexact 0
		.amdhsa_exception_int_div_zero 0
	.end_amdhsa_kernel
	.text
.Lfunc_end1:
	.size	_Z9comm_initPK15HIP_vector_typeIfLj2EEPS0_S2_i, .Lfunc_end1-_Z9comm_initPK15HIP_vector_typeIfLj2EEPS0_S2_i
                                        ; -- End function
	.set _Z9comm_initPK15HIP_vector_typeIfLj2EEPS0_S2_i.num_vgpr, 20
	.set _Z9comm_initPK15HIP_vector_typeIfLj2EEPS0_S2_i.num_agpr, 0
	.set _Z9comm_initPK15HIP_vector_typeIfLj2EEPS0_S2_i.numbered_sgpr, 24
	.set _Z9comm_initPK15HIP_vector_typeIfLj2EEPS0_S2_i.num_named_barrier, 0
	.set _Z9comm_initPK15HIP_vector_typeIfLj2EEPS0_S2_i.private_seg_size, 0
	.set _Z9comm_initPK15HIP_vector_typeIfLj2EEPS0_S2_i.uses_vcc, 1
	.set _Z9comm_initPK15HIP_vector_typeIfLj2EEPS0_S2_i.uses_flat_scratch, 0
	.set _Z9comm_initPK15HIP_vector_typeIfLj2EEPS0_S2_i.has_dyn_sized_stack, 0
	.set _Z9comm_initPK15HIP_vector_typeIfLj2EEPS0_S2_i.has_recursion, 0
	.set _Z9comm_initPK15HIP_vector_typeIfLj2EEPS0_S2_i.has_indirect_call, 0
	.section	.AMDGPU.csdata,"",@progbits
; Kernel info:
; codeLenInByte = 752
; TotalNumSgprs: 26
; NumVgprs: 20
; ScratchSize: 0
; MemoryBound: 0
; FloatMode: 240
; IeeeMode: 1
; LDSByteSize: 0 bytes/workgroup (compile time only)
; SGPRBlocks: 0
; VGPRBlocks: 1
; NumSGPRsForWavesPerEU: 26
; NumVGPRsForWavesPerEU: 20
; NamedBarCnt: 0
; Occupancy: 16
; WaveLimiterHint : 0
; COMPUTE_PGM_RSRC2:SCRATCH_EN: 0
; COMPUTE_PGM_RSRC2:USER_SGPR: 2
; COMPUTE_PGM_RSRC2:TRAP_HANDLER: 0
; COMPUTE_PGM_RSRC2:TGID_X_EN: 1
; COMPUTE_PGM_RSRC2:TGID_Y_EN: 0
; COMPUTE_PGM_RSRC2:TGID_Z_EN: 0
; COMPUTE_PGM_RSRC2:TIDIG_COMP_CNT: 0
	.text
	.protected	_Z13comm_refactorPK15HIP_vector_typeIfLj2EEPS0_S2_i ; -- Begin function _Z13comm_refactorPK15HIP_vector_typeIfLj2EEPS0_S2_i
	.globl	_Z13comm_refactorPK15HIP_vector_typeIfLj2EEPS0_S2_i
	.p2align	8
	.type	_Z13comm_refactorPK15HIP_vector_typeIfLj2EEPS0_S2_i,@function
_Z13comm_refactorPK15HIP_vector_typeIfLj2EEPS0_S2_i: ; @_Z13comm_refactorPK15HIP_vector_typeIfLj2EEPS0_S2_i
; %bb.0:
	s_load_b32 s26, s[0:1], 0x18
	s_wait_kmcnt 0x0
	s_cmp_lt_i32 s26, 1
	s_cbranch_scc1 .LBB2_7
; %bb.1:
	v_s_sqrt_f32 s2, 0
	s_bfe_u32 s3, ttmp6, 0x4000c
	s_and_b32 s4, ttmp6, 15
	s_add_co_i32 s3, s3, 1
	s_getreg_b32 s5, hwreg(HW_REG_IB_STS2, 6, 4)
	s_mul_i32 s3, ttmp9, s3
	s_mul_i32 s6, s26, s26
	s_add_co_i32 s4, s4, s3
	s_fmamk_f32 s2, s2, 0x0, s2
	s_mov_b32 s7, 0
	s_delay_alu instid0(SALU_CYCLE_1) | instskip(NEXT) | instid1(SALU_CYCLE_1)
	s_mov_b32 s9, s7
	s_add_f32 s2, s2, s2
	s_delay_alu instid0(SALU_CYCLE_3) | instskip(SKIP_1) | instid1(SALU_CYCLE_2)
	s_sub_f32 s2, 0x40490fdb, s2
	v_nop
	v_div_scale_f32 v1, null, s2, s2, 1.0
	v_div_scale_f32 v4, vcc_lo, 1.0, s2, 1.0
	s_delay_alu instid0(VALU_DEP_2)
	v_rcp_f32_e32 v2, v1
	v_nop
	v_xor_b32_e32 v1, 0x80000000, v1
	s_delay_alu instid0(TRANS32_DEP_1) | instid1(VALU_DEP_1)
	v_fma_f32 v3, v1, v2, 1.0
	s_delay_alu instid0(VALU_DEP_1) | instskip(NEXT) | instid1(VALU_DEP_1)
	v_fmac_f32_e32 v2, v3, v2
	v_mul_f32_e32 v3, v4, v2
	s_delay_alu instid0(VALU_DEP_1) | instskip(NEXT) | instid1(VALU_DEP_1)
	v_fma_f32 v5, v1, v3, v4
	v_fmac_f32_e32 v3, v5, v2
	s_delay_alu instid0(VALU_DEP_1) | instskip(NEXT) | instid1(VALU_DEP_1)
	v_fmac_f32_e32 v4, v1, v3
	v_div_fmas_f32 v1, v4, v2, v3
	s_delay_alu instid0(VALU_DEP_1) | instskip(SKIP_1) | instid1(VALU_DEP_1)
	v_div_fixup_f32 v1, v1, s2, 1.0
	s_load_b32 s2, s[0:1], 0x2c
	v_div_scale_f32 v2, null, v1, v1, 0x3a83126f
	v_div_scale_f32 v5, vcc_lo, 0x3a83126f, v1, 0x3a83126f
	s_delay_alu instid0(VALU_DEP_2)
	v_rcp_f32_e32 v3, v2
	v_nop
	v_xor_b32_e32 v2, 0x80000000, v2
	s_delay_alu instid0(TRANS32_DEP_1) | instid1(VALU_DEP_1)
	v_fma_f32 v4, v2, v3, 1.0
	s_wait_kmcnt 0x0
	s_and_b32 s2, s2, 0xffff
	s_cmp_eq_u32 s5, 0
	s_cselect_b32 s3, ttmp9, s4
	s_load_b64 s[4:5], s[0:1], 0x10
	v_mad_u32 v0, s3, s2, v0
	s_wait_xcnt 0x0
	s_load_b128 s[0:3], s[0:1], 0x0
	s_lshl_b32 s8, s26, 1
	s_delay_alu instid0(SALU_CYCLE_1) | instskip(SKIP_4) | instid1(VALU_DEP_1)
	s_lshl_b64 s[12:13], s[8:9], 2
	s_ashr_i32 s9, s8, 31
	s_add_co_i32 s27, s8, 2
	s_lshl_b64 s[14:15], s[8:9], 2
	s_mov_b32 s9, s7
	v_mul_lo_u32 v16, s6, v0
	s_mov_b32 s6, s7
	s_wait_kmcnt 0x0
	s_add_nc_u64 s[10:11], s[4:5], 4
	s_add_nc_u64 s[16:17], s[0:1], 4
	s_delay_alu instid0(VALU_DEP_1) | instskip(NEXT) | instid1(VALU_DEP_1)
	v_dual_lshlrev_b32 v17, 1, v16 :: v_dual_fmac_f32 v3, v4, v3
	v_mul_f32_e32 v4, v5, v3
	s_delay_alu instid0(VALU_DEP_1) | instskip(NEXT) | instid1(VALU_DEP_1)
	v_fma_f32 v6, v2, v4, v5
	v_fmac_f32_e32 v4, v6, v3
	s_delay_alu instid0(VALU_DEP_1) | instskip(NEXT) | instid1(VALU_DEP_1)
	v_dual_fmac_f32 v5, v2, v4 :: v_dual_mov_b32 v2, v17
	v_div_fmas_f32 v0, v5, v3, v4
	s_delay_alu instid0(VALU_DEP_1) | instskip(NEXT) | instid1(VALU_DEP_1)
	v_div_fixup_f32 v0, v0, v1, 0x3a83126f
	v_mov_b32_e32 v1, v0
.LBB2_2:                                ; =>This Loop Header: Depth=1
                                        ;     Child Loop BB2_3 Depth 2
                                        ;       Child Loop BB2_4 Depth 3
	v_mad_u32 v18, s9, s26, v16
	v_dual_mov_b32 v6, v17 :: v_dual_ashrrev_i32 v3, 31, v2
	s_lshl_b64 s[18:19], s[6:7], 2
	s_mov_b64 s[20:21], s[4:5]
	s_add_nc_u64 s[18:19], s[10:11], s[18:19]
	s_delay_alu instid0(VALU_DEP_1)
	v_lshl_add_u64 v[4:5], v[2:3], 2, s[16:17]
	s_mov_b32 s28, 0
.LBB2_3:                                ;   Parent Loop BB2_2 Depth=1
                                        ; =>  This Loop Header: Depth=2
                                        ;       Child Loop BB2_4 Depth 3
	v_dual_mov_b32 v12, 0 :: v_dual_ashrrev_i32 v7, 31, v6
	s_wait_xcnt 0x0
	s_delay_alu instid0(VALU_DEP_2)
	v_mov_b64_e32 v[8:9], v[4:5]
	s_mov_b32 s29, 0
	s_mov_b64 s[22:23], s[18:19]
	v_lshl_add_u64 v[10:11], v[6:7], 2, s[0:1]
	v_mov_b32_e32 v13, v12
	s_mov_b64 s[24:25], s[20:21]
	s_mov_b32 s30, 0
.LBB2_4:                                ;   Parent Loop BB2_2 Depth=1
                                        ;     Parent Loop BB2_3 Depth=2
                                        ; =>    This Inner Loop Header: Depth=3
	global_load_b64 v[14:15], v[10:11], off
	global_load_b64 v[20:21], v[8:9], off offset:-4
	s_add_nc_u64 s[34:35], s[22:23], -4
	s_load_b32 s37, s[4:5], s29 offset:0x4 scale_offset
	s_load_b32 s36, s[24:25], 0x0
	s_load_b64 s[38:39], s[34:35], 0x0
	v_add_nc_u64_e32 v[10:11], s[14:15], v[10:11]
	v_add_nc_u64_e32 v[8:9], 8, v[8:9]
	s_add_co_i32 s30, s30, 1
	s_wait_xcnt 0x0
	s_add_co_i32 s29, s29, s27
	s_add_nc_u64 s[24:25], s[24:25], s[12:13]
	s_cmp_eq_u32 s26, s30
	s_add_nc_u64 s[22:23], s[22:23], 8
	s_wait_kmcnt 0x0
	v_dual_mov_b32 v22, s37 :: v_dual_mov_b32 v23, s36
	v_mov_b64_e32 v[24:25], s[38:39]
	v_mov_b64_e32 v[26:27], s[36:37]
	s_wait_loadcnt 0x1
	v_pk_fma_f32 v[12:13], s[38:39], v[14:15], v[12:13] op_sel:[0,1,0] op_sel_hi:[0,0,1]
	s_wait_loadcnt 0x0
	s_delay_alu instid0(VALU_DEP_1) | instskip(NEXT) | instid1(VALU_DEP_1)
	v_pk_fma_f32 v[12:13], v[20:21], v[22:23], v[12:13] op_sel_hi:[0,1,1] neg_lo:[1,0,0] neg_hi:[1,0,0]
	v_pk_fma_f32 v[24:25], v[24:25], v[14:15], v[12:13] op_sel:[1,0,0] neg_lo:[1,0,0] neg_hi:[1,0,0]
	v_mov_b32_e32 v22, s39
	s_delay_alu instid0(VALU_DEP_1) | instskip(NEXT) | instid1(VALU_DEP_3)
	v_pk_fma_f32 v[12:13], v[22:23], v[14:15], v[12:13]
	v_mov_b32_e32 v13, v25
	s_delay_alu instid0(VALU_DEP_1) | instskip(SKIP_1) | instid1(VALU_DEP_2)
	v_pk_fma_f32 v[14:15], v[20:21], v[26:27], v[12:13] op_sel:[1,0,0]
	v_pk_fma_f32 v[12:13], v[20:21], v[26:27], v[12:13] op_sel:[1,0,0] neg_lo:[1,0,0] neg_hi:[1,0,0]
	v_mov_b32_e32 v13, v15
	s_cbranch_scc0 .LBB2_4
; %bb.5:                                ;   in Loop: Header=BB2_3 Depth=2
	v_add_lshl_u32 v8, v18, s28, 1
	s_add_co_i32 s28, s28, 1
	s_add_nc_u64 s[20:21], s[20:21], 8
	s_cmp_eq_u32 s28, s26
	s_delay_alu instid0(VALU_DEP_1) | instskip(SKIP_1) | instid1(VALU_DEP_2)
	v_dual_mov_b32 v13, v15 :: v_dual_ashrrev_i32 v9, 31, v8
	v_add_nc_u32_e32 v6, 2, v6
	v_lshl_add_u64 v[8:9], v[8:9], 2, s[2:3]
	global_load_b64 v[10:11], v[8:9], off
	s_wait_loadcnt 0x0
	v_pk_fma_f32 v[14:15], v[0:1], v[12:13], v[10:11] neg_lo:[1,0,0] neg_hi:[1,0,0]
	v_pk_fma_f32 v[10:11], v[0:1], v[12:13], v[10:11]
	s_delay_alu instid0(VALU_DEP_2)
	v_mov_b32_e32 v11, v15
	global_store_b64 v[8:9], v[10:11], off
	s_cbranch_scc0 .LBB2_3
; %bb.6:                                ;   in Loop: Header=BB2_2 Depth=1
	v_add_nc_u32_e32 v2, s8, v2
	s_add_co_i32 s9, s9, 1
	s_add_co_i32 s6, s6, s8
	s_cmp_eq_u32 s9, s26
	s_cbranch_scc0 .LBB2_2
.LBB2_7:
	s_endpgm
	.section	.rodata,"a",@progbits
	.p2align	6, 0x0
	.amdhsa_kernel _Z13comm_refactorPK15HIP_vector_typeIfLj2EEPS0_S2_i
		.amdhsa_group_segment_fixed_size 0
		.amdhsa_private_segment_fixed_size 0
		.amdhsa_kernarg_size 288
		.amdhsa_user_sgpr_count 2
		.amdhsa_user_sgpr_dispatch_ptr 0
		.amdhsa_user_sgpr_queue_ptr 0
		.amdhsa_user_sgpr_kernarg_segment_ptr 1
		.amdhsa_user_sgpr_dispatch_id 0
		.amdhsa_user_sgpr_kernarg_preload_length 0
		.amdhsa_user_sgpr_kernarg_preload_offset 0
		.amdhsa_user_sgpr_private_segment_size 0
		.amdhsa_wavefront_size32 1
		.amdhsa_uses_dynamic_stack 0
		.amdhsa_enable_private_segment 0
		.amdhsa_system_sgpr_workgroup_id_x 1
		.amdhsa_system_sgpr_workgroup_id_y 0
		.amdhsa_system_sgpr_workgroup_id_z 0
		.amdhsa_system_sgpr_workgroup_info 0
		.amdhsa_system_vgpr_workitem_id 0
		.amdhsa_next_free_vgpr 28
		.amdhsa_next_free_sgpr 40
		.amdhsa_named_barrier_count 0
		.amdhsa_reserve_vcc 1
		.amdhsa_float_round_mode_32 0
		.amdhsa_float_round_mode_16_64 0
		.amdhsa_float_denorm_mode_32 3
		.amdhsa_float_denorm_mode_16_64 3
		.amdhsa_fp16_overflow 0
		.amdhsa_memory_ordered 1
		.amdhsa_forward_progress 1
		.amdhsa_inst_pref_size 7
		.amdhsa_round_robin_scheduling 0
		.amdhsa_exception_fp_ieee_invalid_op 0
		.amdhsa_exception_fp_denorm_src 0
		.amdhsa_exception_fp_ieee_div_zero 0
		.amdhsa_exception_fp_ieee_overflow 0
		.amdhsa_exception_fp_ieee_underflow 0
		.amdhsa_exception_fp_ieee_inexact 0
		.amdhsa_exception_int_div_zero 0
	.end_amdhsa_kernel
	.text
.Lfunc_end2:
	.size	_Z13comm_refactorPK15HIP_vector_typeIfLj2EEPS0_S2_i, .Lfunc_end2-_Z13comm_refactorPK15HIP_vector_typeIfLj2EEPS0_S2_i
                                        ; -- End function
	.set _Z13comm_refactorPK15HIP_vector_typeIfLj2EEPS0_S2_i.num_vgpr, 28
	.set _Z13comm_refactorPK15HIP_vector_typeIfLj2EEPS0_S2_i.num_agpr, 0
	.set _Z13comm_refactorPK15HIP_vector_typeIfLj2EEPS0_S2_i.numbered_sgpr, 40
	.set _Z13comm_refactorPK15HIP_vector_typeIfLj2EEPS0_S2_i.num_named_barrier, 0
	.set _Z13comm_refactorPK15HIP_vector_typeIfLj2EEPS0_S2_i.private_seg_size, 0
	.set _Z13comm_refactorPK15HIP_vector_typeIfLj2EEPS0_S2_i.uses_vcc, 1
	.set _Z13comm_refactorPK15HIP_vector_typeIfLj2EEPS0_S2_i.uses_flat_scratch, 0
	.set _Z13comm_refactorPK15HIP_vector_typeIfLj2EEPS0_S2_i.has_dyn_sized_stack, 0
	.set _Z13comm_refactorPK15HIP_vector_typeIfLj2EEPS0_S2_i.has_recursion, 0
	.set _Z13comm_refactorPK15HIP_vector_typeIfLj2EEPS0_S2_i.has_indirect_call, 0
	.section	.AMDGPU.csdata,"",@progbits
; Kernel info:
; codeLenInByte = 852
; TotalNumSgprs: 42
; NumVgprs: 28
; ScratchSize: 0
; MemoryBound: 0
; FloatMode: 240
; IeeeMode: 1
; LDSByteSize: 0 bytes/workgroup (compile time only)
; SGPRBlocks: 0
; VGPRBlocks: 1
; NumSGPRsForWavesPerEU: 42
; NumVGPRsForWavesPerEU: 28
; NamedBarCnt: 0
; Occupancy: 16
; WaveLimiterHint : 0
; COMPUTE_PGM_RSRC2:SCRATCH_EN: 0
; COMPUTE_PGM_RSRC2:USER_SGPR: 2
; COMPUTE_PGM_RSRC2:TRAP_HANDLER: 0
; COMPUTE_PGM_RSRC2:TGID_X_EN: 1
; COMPUTE_PGM_RSRC2:TGID_Y_EN: 0
; COMPUTE_PGM_RSRC2:TGID_Z_EN: 0
; COMPUTE_PGM_RSRC2:TIDIG_COMP_CNT: 0
	.text
	.protected	_Z26comm_refactor_direct_storePK15HIP_vector_typeIfLj2EEPS0_S2_i ; -- Begin function _Z26comm_refactor_direct_storePK15HIP_vector_typeIfLj2EEPS0_S2_i
	.globl	_Z26comm_refactor_direct_storePK15HIP_vector_typeIfLj2EEPS0_S2_i
	.p2align	8
	.type	_Z26comm_refactor_direct_storePK15HIP_vector_typeIfLj2EEPS0_S2_i,@function
_Z26comm_refactor_direct_storePK15HIP_vector_typeIfLj2EEPS0_S2_i: ; @_Z26comm_refactor_direct_storePK15HIP_vector_typeIfLj2EEPS0_S2_i
; %bb.0:
	s_load_b32 s26, s[0:1], 0x18
	s_wait_kmcnt 0x0
	s_cmp_lt_i32 s26, 1
	s_cbranch_scc1 .LBB3_7
; %bb.1:
	s_load_b32 s2, s[0:1], 0x2c
	s_bfe_u32 s3, ttmp6, 0x4000c
	s_and_b32 s4, ttmp6, 15
	s_add_co_i32 s3, s3, 1
	s_getreg_b32 s5, hwreg(HW_REG_IB_STS2, 6, 4)
	s_mul_i32 s3, ttmp9, s3
	s_delay_alu instid0(SALU_CYCLE_1)
	s_add_co_i32 s4, s4, s3
	s_wait_kmcnt 0x0
	s_and_b32 s2, s2, 0xffff
	s_cmp_eq_u32 s5, 0
	s_cselect_b32 s3, ttmp9, s4
	s_lshl_b32 s8, s26, 1
	v_mad_u32 v0, s3, s2, v0
	s_clause 0x1
	s_load_b64 s[2:3], s[0:1], 0x10
	s_load_b128 s[4:7], s[0:1], 0x0
	s_wait_xcnt 0x0
	s_mul_i32 s0, s26, s26
	s_mov_b32 s1, 0
	s_add_co_i32 s27, s8, 2
	s_mov_b32 s9, s1
	s_delay_alu instid0(SALU_CYCLE_1) | instskip(SKIP_1) | instid1(SALU_CYCLE_1)
	s_lshl_b64 s[10:11], s[8:9], 2
	s_ashr_i32 s9, s8, 31
	s_lshl_b64 s[12:13], s[8:9], 2
	v_mul_lo_u32 v14, s0, v0
	s_mov_b32 s0, s1
	s_mov_b32 s9, s1
	s_wait_kmcnt 0x0
	s_add_nc_u64 s[14:15], s[2:3], 4
	s_add_nc_u64 s[16:17], s[4:5], 4
	s_delay_alu instid0(VALU_DEP_1) | instskip(NEXT) | instid1(VALU_DEP_1)
	v_lshlrev_b32_e32 v15, 1, v14
	v_mov_b32_e32 v0, v15
.LBB3_2:                                ; =>This Loop Header: Depth=1
                                        ;     Child Loop BB3_3 Depth 2
                                        ;       Child Loop BB3_4 Depth 3
	v_mad_u32 v16, s9, s26, v14
	s_delay_alu instid0(VALU_DEP_2) | instskip(SKIP_3) | instid1(VALU_DEP_1)
	v_dual_mov_b32 v4, v15 :: v_dual_ashrrev_i32 v1, 31, v0
	s_lshl_b64 s[18:19], s[0:1], 2
	s_mov_b64 s[20:21], s[2:3]
	s_add_nc_u64 s[18:19], s[14:15], s[18:19]
	v_lshl_add_u64 v[2:3], v[0:1], 2, s[16:17]
	s_mov_b32 s28, 0
.LBB3_3:                                ;   Parent Loop BB3_2 Depth=1
                                        ; =>  This Loop Header: Depth=2
                                        ;       Child Loop BB3_4 Depth 3
	s_wait_xcnt 0x0
	s_delay_alu instid0(VALU_DEP_3) | instskip(NEXT) | instid1(VALU_DEP_2)
	v_add_lshl_u32 v6, s28, v16, 1
	v_mov_b64_e32 v[10:11], v[2:3]
	s_mov_b32 s29, 0
	s_mov_b64 s[22:23], s[18:19]
	s_mov_b64 s[24:25], s[20:21]
	v_dual_ashrrev_i32 v7, 31, v6 :: v_dual_ashrrev_i32 v5, 31, v4
	s_mov_b32 s30, 0
	s_delay_alu instid0(VALU_DEP_1) | instskip(NEXT) | instid1(VALU_DEP_2)
	v_lshl_add_u64 v[6:7], v[6:7], 2, s[6:7]
	v_lshl_add_u64 v[8:9], v[4:5], 2, s[4:5]
	global_load_b64 v[12:13], v[6:7], off
.LBB3_4:                                ;   Parent Loop BB3_2 Depth=1
                                        ;     Parent Loop BB3_3 Depth=2
                                        ; =>    This Inner Loop Header: Depth=3
	global_load_b64 v[18:19], v[8:9], off
	global_load_b64 v[20:21], v[10:11], off offset:-4
	s_add_nc_u64 s[34:35], s[22:23], -4
	s_load_b32 s36, s[2:3], s29 offset:0x4 scale_offset
	s_load_b32 s37, s[24:25], 0x0
	s_load_b64 s[38:39], s[34:35], 0x0
	v_add_nc_u64_e32 v[8:9], s[12:13], v[8:9]
	v_add_nc_u64_e32 v[10:11], 8, v[10:11]
	s_add_co_i32 s30, s30, 1
	s_wait_xcnt 0x0
	s_add_co_i32 s29, s29, s27
	s_add_nc_u64 s[24:25], s[24:25], s[10:11]
	s_cmp_eq_u32 s26, s30
	s_add_nc_u64 s[22:23], s[22:23], 8
	s_wait_kmcnt 0x0
	v_mov_b64_e32 v[22:23], s[36:37]
	v_mov_b64_e32 v[26:27], s[38:39]
	s_wait_loadcnt 0x1
	v_pk_fma_f32 v[24:25], s[38:39], v[18:19], v[12:13] op_sel:[0,1,0] op_sel_hi:[0,0,1] neg_lo:[1,0,0] neg_hi:[1,0,0]
	v_pk_fma_f32 v[12:13], s[38:39], v[18:19], v[12:13] op_sel:[0,1,0] op_sel_hi:[0,0,1]
	s_wait_loadcnt 0x0
	s_delay_alu instid0(VALU_DEP_2) | instskip(NEXT) | instid1(VALU_DEP_2)
	v_pk_fma_f32 v[24:25], v[20:21], v[22:23], v[24:25] op_sel_hi:[0,1,1]
	v_pk_fma_f32 v[12:13], v[20:21], v[22:23], v[12:13] op_sel_hi:[0,1,1] neg_lo:[1,0,0] neg_hi:[1,0,0]
	v_dual_mov_b32 v23, s36 :: v_dual_mov_b32 v22, s37
	s_delay_alu instid0(VALU_DEP_3) | instskip(NEXT) | instid1(VALU_DEP_1)
	v_mov_b32_e32 v13, v25
	v_pk_fma_f32 v[12:13], v[18:19], v[26:27], v[12:13] op_sel:[0,1,0]
	s_delay_alu instid0(VALU_DEP_1)
	v_pk_fma_f32 v[12:13], v[22:23], v[20:21], v[12:13] op_sel:[0,1,0] neg_lo:[1,0,0] neg_hi:[1,0,0]
	s_cbranch_scc0 .LBB3_4
; %bb.5:                                ;   in Loop: Header=BB3_3 Depth=2
	v_add_nc_u32_e32 v4, 2, v4
	s_add_co_i32 s28, s28, 1
	s_add_nc_u64 s[20:21], s[20:21], 8
	s_cmp_eq_u32 s28, s26
	global_store_b64 v[6:7], v[12:13], off
	s_cbranch_scc0 .LBB3_3
; %bb.6:                                ;   in Loop: Header=BB3_2 Depth=1
	v_add_nc_u32_e32 v0, s8, v0
	s_add_co_i32 s9, s9, 1
	s_add_co_i32 s0, s0, s8
	s_cmp_eq_u32 s9, s26
	s_cbranch_scc0 .LBB3_2
.LBB3_7:
	s_endpgm
	.section	.rodata,"a",@progbits
	.p2align	6, 0x0
	.amdhsa_kernel _Z26comm_refactor_direct_storePK15HIP_vector_typeIfLj2EEPS0_S2_i
		.amdhsa_group_segment_fixed_size 0
		.amdhsa_private_segment_fixed_size 0
		.amdhsa_kernarg_size 288
		.amdhsa_user_sgpr_count 2
		.amdhsa_user_sgpr_dispatch_ptr 0
		.amdhsa_user_sgpr_queue_ptr 0
		.amdhsa_user_sgpr_kernarg_segment_ptr 1
		.amdhsa_user_sgpr_dispatch_id 0
		.amdhsa_user_sgpr_kernarg_preload_length 0
		.amdhsa_user_sgpr_kernarg_preload_offset 0
		.amdhsa_user_sgpr_private_segment_size 0
		.amdhsa_wavefront_size32 1
		.amdhsa_uses_dynamic_stack 0
		.amdhsa_enable_private_segment 0
		.amdhsa_system_sgpr_workgroup_id_x 1
		.amdhsa_system_sgpr_workgroup_id_y 0
		.amdhsa_system_sgpr_workgroup_id_z 0
		.amdhsa_system_sgpr_workgroup_info 0
		.amdhsa_system_vgpr_workitem_id 0
		.amdhsa_next_free_vgpr 28
		.amdhsa_next_free_sgpr 40
		.amdhsa_named_barrier_count 0
		.amdhsa_reserve_vcc 0
		.amdhsa_float_round_mode_32 0
		.amdhsa_float_round_mode_16_64 0
		.amdhsa_float_denorm_mode_32 3
		.amdhsa_float_denorm_mode_16_64 3
		.amdhsa_fp16_overflow 0
		.amdhsa_memory_ordered 1
		.amdhsa_forward_progress 1
		.amdhsa_inst_pref_size 5
		.amdhsa_round_robin_scheduling 0
		.amdhsa_exception_fp_ieee_invalid_op 0
		.amdhsa_exception_fp_denorm_src 0
		.amdhsa_exception_fp_ieee_div_zero 0
		.amdhsa_exception_fp_ieee_overflow 0
		.amdhsa_exception_fp_ieee_underflow 0
		.amdhsa_exception_fp_ieee_inexact 0
		.amdhsa_exception_int_div_zero 0
	.end_amdhsa_kernel
	.text
.Lfunc_end3:
	.size	_Z26comm_refactor_direct_storePK15HIP_vector_typeIfLj2EEPS0_S2_i, .Lfunc_end3-_Z26comm_refactor_direct_storePK15HIP_vector_typeIfLj2EEPS0_S2_i
                                        ; -- End function
	.set _Z26comm_refactor_direct_storePK15HIP_vector_typeIfLj2EEPS0_S2_i.num_vgpr, 28
	.set _Z26comm_refactor_direct_storePK15HIP_vector_typeIfLj2EEPS0_S2_i.num_agpr, 0
	.set _Z26comm_refactor_direct_storePK15HIP_vector_typeIfLj2EEPS0_S2_i.numbered_sgpr, 40
	.set _Z26comm_refactor_direct_storePK15HIP_vector_typeIfLj2EEPS0_S2_i.num_named_barrier, 0
	.set _Z26comm_refactor_direct_storePK15HIP_vector_typeIfLj2EEPS0_S2_i.private_seg_size, 0
	.set _Z26comm_refactor_direct_storePK15HIP_vector_typeIfLj2EEPS0_S2_i.uses_vcc, 0
	.set _Z26comm_refactor_direct_storePK15HIP_vector_typeIfLj2EEPS0_S2_i.uses_flat_scratch, 0
	.set _Z26comm_refactor_direct_storePK15HIP_vector_typeIfLj2EEPS0_S2_i.has_dyn_sized_stack, 0
	.set _Z26comm_refactor_direct_storePK15HIP_vector_typeIfLj2EEPS0_S2_i.has_recursion, 0
	.set _Z26comm_refactor_direct_storePK15HIP_vector_typeIfLj2EEPS0_S2_i.has_indirect_call, 0
	.section	.AMDGPU.csdata,"",@progbits
; Kernel info:
; codeLenInByte = 548
; TotalNumSgprs: 40
; NumVgprs: 28
; ScratchSize: 0
; MemoryBound: 0
; FloatMode: 240
; IeeeMode: 1
; LDSByteSize: 0 bytes/workgroup (compile time only)
; SGPRBlocks: 0
; VGPRBlocks: 1
; NumSGPRsForWavesPerEU: 40
; NumVGPRsForWavesPerEU: 28
; NamedBarCnt: 0
; Occupancy: 16
; WaveLimiterHint : 0
; COMPUTE_PGM_RSRC2:SCRATCH_EN: 0
; COMPUTE_PGM_RSRC2:USER_SGPR: 2
; COMPUTE_PGM_RSRC2:TRAP_HANDLER: 0
; COMPUTE_PGM_RSRC2:TGID_X_EN: 1
; COMPUTE_PGM_RSRC2:TGID_Y_EN: 0
; COMPUTE_PGM_RSRC2:TGID_Z_EN: 0
; COMPUTE_PGM_RSRC2:TIDIG_COMP_CNT: 0
	.text
	.protected	_Z16comm_aosoa_naivePK15HIP_vector_typeIfLj2EEPS0_S2_i ; -- Begin function _Z16comm_aosoa_naivePK15HIP_vector_typeIfLj2EEPS0_S2_i
	.globl	_Z16comm_aosoa_naivePK15HIP_vector_typeIfLj2EEPS0_S2_i
	.p2align	8
	.type	_Z16comm_aosoa_naivePK15HIP_vector_typeIfLj2EEPS0_S2_i,@function
_Z16comm_aosoa_naivePK15HIP_vector_typeIfLj2EEPS0_S2_i: ; @_Z16comm_aosoa_naivePK15HIP_vector_typeIfLj2EEPS0_S2_i
; %bb.0:
	s_load_b32 s2, s[0:1], 0x18
	s_wait_kmcnt 0x0
	s_cmp_lt_i32 s2, 1
	s_cbranch_scc1 .LBB4_7
; %bb.1:
	s_load_b32 s3, s[0:1], 0x2c
	s_bfe_u32 s4, ttmp6, 0x4000c
	s_and_b32 s5, ttmp6, 15
	s_add_co_i32 s4, s4, 1
	s_getreg_b32 s6, hwreg(HW_REG_IB_STS2, 6, 4)
	s_mul_i32 s4, ttmp9, s4
	s_lshl_b32 s20, s2, 4
	s_add_co_i32 s5, s5, s4
	s_mul_i32 s21, s2, s2
	s_delay_alu instid0(SALU_CYCLE_1) | instskip(SKIP_4) | instid1(SALU_CYCLE_1)
	s_mov_b32 s22, s21
	s_wait_kmcnt 0x0
	s_and_b32 s3, s3, 0xffff
	s_cmp_eq_u32 s6, 0
	s_cselect_b32 s4, ttmp9, s5
	v_mad_u32 v2, s4, s3, v0
	s_clause 0x1
	s_load_b64 s[8:9], s[0:1], 0x10
	s_load_b128 s[4:7], s[0:1], 0x0
	s_wait_xcnt 0x0
	s_lshl_b32 s0, s21, 4
	s_mov_b32 s3, 0
	s_add_co_i32 s1, s0, -8
	s_delay_alu instid0(VALU_DEP_1) | instskip(NEXT) | instid1(VALU_DEP_1)
	v_dual_mov_b32 v7, v2 :: v_dual_ashrrev_i32 v0, 31, v2
	v_lshrrev_b32_e32 v0, 29, v0
	s_wait_kmcnt 0x0
	s_mov_b64 s[10:11], s[8:9]
	s_delay_alu instid0(VALU_DEP_1) | instskip(NEXT) | instid1(VALU_DEP_1)
	v_add_nc_u32_e32 v0, v2, v0
	v_dual_ashrrev_i32 v0, 3, v0 :: v_dual_bitop2_b32 v1, -8, v0 bitop3:0x40
	s_delay_alu instid0(VALU_DEP_1) | instskip(NEXT) | instid1(VALU_DEP_2)
	v_sub_nc_u32_e32 v3, v2, v1
	v_mul_lo_u32 v4, s0, v0
	v_mul_lo_u32 v5, v0, s1
	s_lshl_b64 s[0:1], s[2:3], 2
	s_delay_alu instid0(VALU_DEP_3)
	v_add_nc_u32_e32 v6, 8, v3
.LBB4_2:                                ; =>This Loop Header: Depth=1
                                        ;     Child Loop BB4_3 Depth 2
                                        ;       Child Loop BB4_4 Depth 3
	v_mov_b32_e32 v8, v2
	s_mul_i32 s23, s3, s2
	s_mov_b64 s[12:13], s[8:9]
	s_mov_b32 s24, s21
	s_mov_b32 s25, 0
.LBB4_3:                                ;   Parent Loop BB4_2 Depth=1
                                        ; =>  This Loop Header: Depth=2
                                        ;       Child Loop BB4_4 Depth 3
	s_wait_xcnt 0x0
	v_dual_mov_b32 v0, 0 :: v_dual_mov_b32 v9, v7
	v_mov_b32_e32 v10, v8
	s_mov_b32 s26, 0
	s_mov_b64 s[14:15], s[10:11]
	s_delay_alu instid0(VALU_DEP_2)
	v_mov_b32_e32 v1, v0
	s_mov_b64 s[16:17], s[12:13]
	s_mov_b32 s18, s24
.LBB4_4:                                ;   Parent Loop BB4_2 Depth=1
                                        ;     Parent Loop BB4_3 Depth=2
                                        ; =>    This Inner Loop Header: Depth=3
	s_wait_xcnt 0x0
	v_dual_add_nc_u32 v11, v5, v10 :: v_dual_add_nc_u32 v15, v5, v9
	s_ashr_i32 s19, s18, 31
	v_add_nc_u32_e32 v9, 16, v9
	s_lshl_b64 s[34:35], s[18:19], 2
	s_delay_alu instid0(VALU_DEP_2)
	v_add_nc_u32_e32 v16, 8, v11
	s_add_nc_u64 s[34:35], s[8:9], s[34:35]
	s_add_co_i32 s19, s22, s26
	s_clause 0x2
	global_load_b32 v13, v11, s[4:5] scale_offset
	global_load_b32 v14, v15, s[4:5] scale_offset
	;; [unrolled: 1-line block ×3, first 2 shown]
	s_wait_xcnt 0x2
	v_add_nc_u32_e32 v11, 8, v15
	s_load_b32 s31, s[16:17], 0x0
	s_load_b32 s30, s[34:35], 0x0
	;; [unrolled: 1-line block ×3, first 2 shown]
	s_add_co_i32 s26, s26, 1
	s_wait_xcnt 0x0
	s_load_b32 s34, s[8:9], s19 offset:0x0 scale_offset
	s_add_co_i32 s18, s18, s2
	s_add_nc_u64 s[16:17], s[16:17], s[0:1]
	s_cmp_eq_u32 s2, s26
	s_add_nc_u64 s[14:15], s[14:15], 4
	v_add_nc_u32_e32 v10, s20, v10
	s_wait_kmcnt 0x0
	v_mov_b64_e32 v[18:19], s[30:31]
	s_wait_loadcnt 0x0
	v_dual_mov_b32 v22, v13 :: v_dual_mov_b32 v23, v12
	global_load_b32 v16, v11, s[4:5] scale_offset
	v_pk_fma_f32 v[20:21], s[28:29], v[12:13], v[0:1] op_sel_hi:[0,1,1] neg_lo:[1,0,0] neg_hi:[1,0,0]
	v_pk_fma_f32 v[0:1], s[28:29], v[12:13], v[0:1] op_sel_hi:[0,1,1]
	v_dual_mov_b32 v13, s30 :: v_dual_mov_b32 v12, s31
	s_delay_alu instid0(VALU_DEP_3) | instskip(NEXT) | instid1(VALU_DEP_3)
	v_pk_fma_f32 v[20:21], v[14:15], v[18:19], v[20:21] op_sel_hi:[0,1,1]
	v_pk_fma_f32 v[0:1], v[14:15], v[18:19], v[0:1] op_sel_hi:[0,1,1] neg_lo:[1,0,0] neg_hi:[1,0,0]
	s_delay_alu instid0(VALU_DEP_2) | instskip(NEXT) | instid1(VALU_DEP_1)
	v_mov_b32_e32 v1, v21
	v_pk_fma_f32 v[0:1], v[22:23], s[34:35], v[0:1] op_sel_hi:[1,0,1]
	s_wait_loadcnt 0x0
	s_delay_alu instid0(VALU_DEP_1)
	v_pk_fma_f32 v[0:1], v[12:13], v[16:17], v[0:1] op_sel_hi:[1,0,1] neg_lo:[1,0,0] neg_hi:[1,0,0]
	s_cbranch_scc0 .LBB4_4
; %bb.5:                                ;   in Loop: Header=BB4_3 Depth=2
	s_add_co_i32 s14, s25, s23
	v_add_nc_u32_e32 v8, 16, v8
	v_lshl_add_u32 v9, s14, 4, v4
	s_add_co_i32 s25, s25, 1
	s_add_co_i32 s24, s24, 1
	s_add_nc_u64 s[12:13], s[12:13], 4
	s_cmp_eq_u32 s25, s2
	v_dual_add_nc_u32 v10, v9, v3 :: v_dual_add_nc_u32 v9, v6, v9
	s_clause 0x1
	global_load_b32 v11, v10, s[6:7] scale_offset
	global_load_b32 v12, v9, s[6:7] scale_offset
	s_wait_loadcnt 0x0
	v_dual_add_f32 v0, v0, v11 :: v_dual_add_f32 v1, v1, v12
	s_clause 0x1
	global_store_b32 v10, v0, s[6:7] scale_offset
	global_store_b32 v9, v1, s[6:7] scale_offset
	s_cbranch_scc0 .LBB4_3
; %bb.6:                                ;   in Loop: Header=BB4_2 Depth=1
	v_add_nc_u32_e32 v7, s20, v7
	s_add_co_i32 s3, s3, 1
	s_add_co_i32 s22, s22, s2
	s_cmp_eq_u32 s3, s2
	s_add_nc_u64 s[10:11], s[10:11], s[0:1]
	s_cbranch_scc0 .LBB4_2
.LBB4_7:
	s_endpgm
	.section	.rodata,"a",@progbits
	.p2align	6, 0x0
	.amdhsa_kernel _Z16comm_aosoa_naivePK15HIP_vector_typeIfLj2EEPS0_S2_i
		.amdhsa_group_segment_fixed_size 0
		.amdhsa_private_segment_fixed_size 0
		.amdhsa_kernarg_size 288
		.amdhsa_user_sgpr_count 2
		.amdhsa_user_sgpr_dispatch_ptr 0
		.amdhsa_user_sgpr_queue_ptr 0
		.amdhsa_user_sgpr_kernarg_segment_ptr 1
		.amdhsa_user_sgpr_dispatch_id 0
		.amdhsa_user_sgpr_kernarg_preload_length 0
		.amdhsa_user_sgpr_kernarg_preload_offset 0
		.amdhsa_user_sgpr_private_segment_size 0
		.amdhsa_wavefront_size32 1
		.amdhsa_uses_dynamic_stack 0
		.amdhsa_enable_private_segment 0
		.amdhsa_system_sgpr_workgroup_id_x 1
		.amdhsa_system_sgpr_workgroup_id_y 0
		.amdhsa_system_sgpr_workgroup_id_z 0
		.amdhsa_system_sgpr_workgroup_info 0
		.amdhsa_system_vgpr_workitem_id 0
		.amdhsa_next_free_vgpr 24
		.amdhsa_next_free_sgpr 36
		.amdhsa_named_barrier_count 0
		.amdhsa_reserve_vcc 0
		.amdhsa_float_round_mode_32 0
		.amdhsa_float_round_mode_16_64 0
		.amdhsa_float_denorm_mode_32 3
		.amdhsa_float_denorm_mode_16_64 3
		.amdhsa_fp16_overflow 0
		.amdhsa_memory_ordered 1
		.amdhsa_forward_progress 1
		.amdhsa_inst_pref_size 6
		.amdhsa_round_robin_scheduling 0
		.amdhsa_exception_fp_ieee_invalid_op 0
		.amdhsa_exception_fp_denorm_src 0
		.amdhsa_exception_fp_ieee_div_zero 0
		.amdhsa_exception_fp_ieee_overflow 0
		.amdhsa_exception_fp_ieee_underflow 0
		.amdhsa_exception_fp_ieee_inexact 0
		.amdhsa_exception_int_div_zero 0
	.end_amdhsa_kernel
	.text
.Lfunc_end4:
	.size	_Z16comm_aosoa_naivePK15HIP_vector_typeIfLj2EEPS0_S2_i, .Lfunc_end4-_Z16comm_aosoa_naivePK15HIP_vector_typeIfLj2EEPS0_S2_i
                                        ; -- End function
	.set _Z16comm_aosoa_naivePK15HIP_vector_typeIfLj2EEPS0_S2_i.num_vgpr, 24
	.set _Z16comm_aosoa_naivePK15HIP_vector_typeIfLj2EEPS0_S2_i.num_agpr, 0
	.set _Z16comm_aosoa_naivePK15HIP_vector_typeIfLj2EEPS0_S2_i.numbered_sgpr, 36
	.set _Z16comm_aosoa_naivePK15HIP_vector_typeIfLj2EEPS0_S2_i.num_named_barrier, 0
	.set _Z16comm_aosoa_naivePK15HIP_vector_typeIfLj2EEPS0_S2_i.private_seg_size, 0
	.set _Z16comm_aosoa_naivePK15HIP_vector_typeIfLj2EEPS0_S2_i.uses_vcc, 0
	.set _Z16comm_aosoa_naivePK15HIP_vector_typeIfLj2EEPS0_S2_i.uses_flat_scratch, 0
	.set _Z16comm_aosoa_naivePK15HIP_vector_typeIfLj2EEPS0_S2_i.has_dyn_sized_stack, 0
	.set _Z16comm_aosoa_naivePK15HIP_vector_typeIfLj2EEPS0_S2_i.has_recursion, 0
	.set _Z16comm_aosoa_naivePK15HIP_vector_typeIfLj2EEPS0_S2_i.has_indirect_call, 0
	.section	.AMDGPU.csdata,"",@progbits
; Kernel info:
; codeLenInByte = 684
; TotalNumSgprs: 36
; NumVgprs: 24
; ScratchSize: 0
; MemoryBound: 0
; FloatMode: 240
; IeeeMode: 1
; LDSByteSize: 0 bytes/workgroup (compile time only)
; SGPRBlocks: 0
; VGPRBlocks: 1
; NumSGPRsForWavesPerEU: 36
; NumVGPRsForWavesPerEU: 24
; NamedBarCnt: 0
; Occupancy: 16
; WaveLimiterHint : 0
; COMPUTE_PGM_RSRC2:SCRATCH_EN: 0
; COMPUTE_PGM_RSRC2:USER_SGPR: 2
; COMPUTE_PGM_RSRC2:TRAP_HANDLER: 0
; COMPUTE_PGM_RSRC2:TGID_X_EN: 1
; COMPUTE_PGM_RSRC2:TGID_Y_EN: 0
; COMPUTE_PGM_RSRC2:TGID_Z_EN: 0
; COMPUTE_PGM_RSRC2:TIDIG_COMP_CNT: 0
	.text
	.protected	_Z26comm_aosoa_naive_constantsPK15HIP_vector_typeIfLj2EEPS0_S2_i ; -- Begin function _Z26comm_aosoa_naive_constantsPK15HIP_vector_typeIfLj2EEPS0_S2_i
	.globl	_Z26comm_aosoa_naive_constantsPK15HIP_vector_typeIfLj2EEPS0_S2_i
	.p2align	8
	.type	_Z26comm_aosoa_naive_constantsPK15HIP_vector_typeIfLj2EEPS0_S2_i,@function
_Z26comm_aosoa_naive_constantsPK15HIP_vector_typeIfLj2EEPS0_S2_i: ; @_Z26comm_aosoa_naive_constantsPK15HIP_vector_typeIfLj2EEPS0_S2_i
; %bb.0:
	s_load_b32 s2, s[0:1], 0x2c
	s_bfe_u32 s3, ttmp6, 0x4000c
	s_and_b32 s4, ttmp6, 15
	s_add_co_i32 s3, s3, 1
	s_getreg_b32 s5, hwreg(HW_REG_IB_STS2, 6, 4)
	s_mul_i32 s3, ttmp9, s3
	s_mov_b64 s[20:21], 0xfffffffffffffe94
	s_add_co_i32 s4, s4, s3
	s_mov_b64 s[22:23], 0xffffffffffffff58
	s_mov_b64 s[24:25], 0xfffffffffffffeb0
	s_mov_b64 s[26:27], 0xffffffffffffff74
	s_mov_b64 s[28:29], 0xfffffffffffffecc
	s_mov_b64 s[30:31], 0xffffffffffffff90
	s_mov_b64 s[36:37], 0xfffffffffffffee8
	s_mov_b64 s[38:39], 0xffffffffffffffac
	s_mov_b64 s[40:41], 0xffffffffffffff04
	s_mov_b64 s[42:43], 0xffffffffffffffc8
	s_mov_b64 s[44:45], 0xffffffffffffff20
	s_mov_b64 s[46:47], 0xffffffffffffffe4
	s_mov_b64 s[48:49], 0xffffffffffffff3c
	s_wait_kmcnt 0x0
	s_and_b32 s2, s2, 0xffff
	s_cmp_eq_u32 s5, 0
	s_mov_b32 s15, 0
	s_cselect_b32 s3, ttmp9, s4
	s_clause 0x1
	s_load_b128 s[4:7], s[0:1], 0x0
	s_load_b64 s[34:35], s[0:1], 0x10
	v_mad_u32 v2, s3, s2, v0
	s_mov_b32 s19, 0
	s_delay_alu instid0(VALU_DEP_1) | instskip(NEXT) | instid1(VALU_DEP_1)
	v_ashrrev_i32_e32 v0, 31, v2
	v_lshrrev_b32_e32 v0, 29, v0
	s_wait_kmcnt 0x0
	s_add_nc_u64 s[50:51], s[34:35], 0x16c
	s_delay_alu instid0(VALU_DEP_1) | instskip(NEXT) | instid1(VALU_DEP_1)
	v_add_nc_u32_e32 v0, v2, v0
	v_dual_ashrrev_i32 v3, 3, v0 :: v_dual_bitop2_b32 v1, -8, v0 bitop3:0x40
	s_delay_alu instid0(VALU_DEP_1) | instskip(NEXT) | instid1(VALU_DEP_2)
	v_mul_lo_u32 v0, 0x310, v3
	v_sub_nc_u32_e32 v1, v2, v1
	v_mad_u32 v2, 0x308, v3, v2
	s_delay_alu instid0(VALU_DEP_1)
	v_dual_mov_b32 v4, v2 :: v_dual_add_nc_u32 v3, 8, v1
.LBB5_1:                                ; =>This Loop Header: Depth=1
                                        ;     Child Loop BB5_2 Depth 2
	s_delay_alu instid0(VALU_DEP_4) | instskip(SKIP_3) | instid1(SALU_CYCLE_1)
	v_mad_u32 v5, 0x70, s19, v0
	s_mul_i32 s14, s19, 7
	s_mov_b32 s33, 0
	s_lshl_b32 s0, s14, 4
	v_add3_u32 v7, s0, 32, v0
	v_add3_u32 v6, s0, 16, v0
	v_add3_u32 v8, s0, 48, v0
	v_add3_u32 v13, s0, 64, v0
	v_add3_u32 v14, 0x50, s0, v0
	v_dual_add_nc_u32 v17, v7, v1 :: v_dual_add_nc_u32 v18, v5, v1
	s_wait_xcnt 0x0
	v_dual_add_nc_u32 v19, v3, v5 :: v_dual_add_nc_u32 v20, v3, v7
	v_dual_add_nc_u32 v15, v6, v1 :: v_dual_add_nc_u32 v16, v3, v6
	;; [unrolled: 1-line block ×3, first 2 shown]
	s_clause 0x7
	global_load_b32 v5, v18, s[4:5] scale_offset
	global_load_b32 v6, v19, s[4:5] scale_offset
	;; [unrolled: 1-line block ×8, first 2 shown]
	s_wait_xcnt 0x5
	v_add3_u32 v15, 0x60, s0, v0
	s_wait_xcnt 0x1
	v_dual_add_nc_u32 v19, v13, v1 :: v_dual_add_nc_u32 v21, v14, v1
	s_wait_xcnt 0x0
	v_dual_add_nc_u32 v20, v3, v13 :: v_dual_add_nc_u32 v22, v3, v14
	v_add_nc_u32_e32 v23, v15, v1
	v_add_nc_u32_e32 v24, v3, v15
	s_clause 0x5
	global_load_b32 v13, v19, s[4:5] scale_offset
	global_load_b32 v14, v20, s[4:5] scale_offset
	;; [unrolled: 1-line block ×6, first 2 shown]
	s_lshl_b64 s[0:1], s[14:15], 2
	s_delay_alu instid0(SALU_CYCLE_1)
	s_add_nc_u64 s[52:53], s[34:35], s[0:1]
	s_clause 0x3
	s_load_b128 s[0:3], s[52:53], 0x0
	s_load_b96 s[12:14], s[52:53], 0x10
	s_load_b128 s[8:11], s[52:53], 0xc4
	s_load_b96 s[16:18], s[52:53], 0xd4
	s_wait_xcnt 0x0
	s_mov_b64 s[52:53], s[50:51]
.LBB5_2:                                ;   Parent Loop BB5_1 Depth=1
                                        ; =>  This Inner Loop Header: Depth=2
	s_wait_xcnt 0x0
	v_dual_add_nc_u32 v19, s33, v2 :: v_dual_add_nc_u32 v33, s33, v4
	s_add_nc_u64 s[54:55], s[52:53], s[20:21]
	s_add_nc_u64 s[56:57], s[52:53], s[22:23]
	s_add_co_i32 s33, s33, 16
	s_delay_alu instid0(VALU_DEP_1)
	v_dual_add_nc_u32 v20, 8, v19 :: v_dual_add_nc_u32 v34, 8, v33
	v_add_nc_u32_e32 v25, 0xe8, v19
	v_add_nc_u32_e32 v29, 0x1c8, v19
	s_clause 0x1
	global_load_b32 v21, v19, s[4:5] scale_offset
	global_load_b32 v20, v20, s[4:5] scale_offset
	v_add_nc_u32_e32 v23, 0x78, v19
	v_add_nc_u32_e32 v24, 0xe0, v19
	s_cmp_lg_u32 s33, 0x70
	s_wait_loadcnt 0x1
	s_wait_kmcnt 0x0
	v_fma_f32 v37, -s0, v21, 0
	v_add_nc_u32_e32 v22, 0x70, v19
	s_wait_loadcnt 0x0
	v_fma_f32 v38, s0, v20, 0
	s_clause 0x3
	global_load_b32 v22, v22, s[4:5] scale_offset
	global_load_b32 v23, v23, s[4:5] scale_offset
	global_load_b32 v24, v24, s[4:5] scale_offset
	global_load_b32 v25, v25, s[4:5] scale_offset
	v_add_nc_u32_e32 v26, 0x150, v19
	v_add_nc_u32_e32 v27, 0x158, v19
	s_clause 0x1
	global_load_b32 v26, v26, s[4:5] scale_offset
	global_load_b32 v27, v27, s[4:5] scale_offset
	v_add_nc_u32_e32 v28, 0x1c0, v19
	s_clause 0x1
	global_load_b32 v28, v28, s[4:5] scale_offset
	global_load_b32 v29, v29, s[4:5] scale_offset
	v_add_nc_u32_e32 v30, 0x230, v19
	v_add_nc_u32_e32 v31, 0x238, v19
	s_clause 0x1
	global_load_b32 v30, v30, s[4:5] scale_offset
	global_load_b32 v31, v31, s[4:5] scale_offset
	v_add_nc_u32_e32 v32, 0x2a0, v19
	s_wait_xcnt 0xb
	v_add_nc_u32_e32 v19, 0x2a8, v19
	s_clause 0x1
	global_load_b32 v32, v32, s[4:5] scale_offset
	global_load_b32 v19, v19, s[4:5] scale_offset
	s_clause 0x1
	global_load_b32 v35, v33, s[6:7] scale_offset
	global_load_b32 v36, v34, s[6:7] scale_offset
	s_clause 0x1
	s_load_b32 s58, s[54:55], 0x0
	s_load_b32 s59, s[56:57], 0x0
	s_wait_xcnt 0x0
	s_add_nc_u64 s[54:55], s[52:53], s[24:25]
	s_add_nc_u64 s[56:57], s[52:53], s[26:27]
	s_clause 0x1
	s_load_b32 s60, s[54:55], 0x0
	s_load_b32 s61, s[56:57], 0x0
	s_wait_xcnt 0x0
	s_add_nc_u64 s[54:55], s[52:53], s[28:29]
	s_add_nc_u64 s[56:57], s[52:53], s[30:31]
	s_wait_kmcnt 0x0
	v_fmac_f32_e32 v37, s58, v5
	v_fma_f32 v38, -v5, s59, v38
	s_delay_alu instid0(VALU_DEP_1) | instskip(NEXT) | instid1(VALU_DEP_1)
	v_dual_fmac_f32 v37, s8, v20 :: v_dual_fmac_f32 v38, s8, v21
	v_fma_f32 v20, -v6, s59, v37
	s_wait_loadcnt 0xd
	s_delay_alu instid0(VALU_DEP_1) | instskip(NEXT) | instid1(VALU_DEP_3)
	v_fma_f32 v20, -s1, v22, v20
	v_fma_f32 v21, -s58, v6, v38
	s_clause 0x1
	s_load_b32 s58, s[54:55], 0x0
	s_load_b32 s59, s[56:57], 0x0
	s_wait_xcnt 0x0
	s_add_nc_u64 s[54:55], s[52:53], s[36:37]
	s_add_nc_u64 s[56:57], s[52:53], s[38:39]
	v_fmac_f32_e32 v20, s60, v7
	s_wait_loadcnt 0xc
	v_fmac_f32_e32 v21, s1, v23
	s_delay_alu instid0(VALU_DEP_1) | instskip(NEXT) | instid1(VALU_DEP_1)
	v_fma_f32 v21, -v7, s61, v21
	v_dual_fmac_f32 v21, s9, v22 :: v_dual_fmac_f32 v20, s9, v23
	s_delay_alu instid0(VALU_DEP_1) | instskip(NEXT) | instid1(VALU_DEP_2)
	v_fma_f32 v21, -s60, v8, v21
	v_fma_f32 v20, -v8, s61, v20
	s_clause 0x1
	s_load_b32 s60, s[54:55], 0x0
	s_load_b32 s61, s[56:57], 0x0
	s_wait_xcnt 0x0
	s_add_nc_u64 s[54:55], s[52:53], s[40:41]
	s_add_nc_u64 s[56:57], s[52:53], s[42:43]
	s_wait_loadcnt 0xa
	v_fmac_f32_e32 v21, s2, v25
	s_wait_kmcnt 0x0
	s_delay_alu instid0(VALU_DEP_1) | instskip(NEXT) | instid1(VALU_DEP_1)
	v_fma_f32 v21, -v9, s59, v21
	v_dual_fmac_f32 v21, s10, v24 :: v_dual_fma_f32 v20, -s2, v24, v20
	s_delay_alu instid0(VALU_DEP_1) | instskip(SKIP_1) | instid1(VALU_DEP_1)
	v_dual_fma_f32 v21, -s58, v10, v21 :: v_dual_fmac_f32 v20, s58, v9
	s_wait_loadcnt 0x8
	v_dual_fmac_f32 v21, s3, v27 :: v_dual_fmac_f32 v20, s10, v25
	s_delay_alu instid0(VALU_DEP_1) | instskip(NEXT) | instid1(VALU_DEP_2)
	v_fma_f32 v21, -v11, s61, v21
	v_fma_f32 v20, -v10, s59, v20
	s_clause 0x1
	s_load_b32 s58, s[54:55], 0x0
	s_load_b32 s59, s[56:57], 0x0
	s_wait_xcnt 0x0
	s_add_nc_u64 s[54:55], s[52:53], s[44:45]
	s_add_nc_u64 s[56:57], s[52:53], s[46:47]
	v_dual_fmac_f32 v21, s11, v26 :: v_dual_fma_f32 v20, -s3, v26, v20
	s_delay_alu instid0(VALU_DEP_1)
	v_dual_fma_f32 v21, -s60, v12, v21 :: v_dual_fmac_f32 v20, s60, v11
	s_clause 0x1
	s_load_b32 s60, s[54:55], 0x0
	s_nop 0
	s_load_b32 s56, s[56:57], 0x0
	s_wait_xcnt 0x0
	s_add_nc_u64 s[54:55], s[52:53], s[48:49]
	s_clause 0x1
	s_load_b32 s57, s[52:53], 0x0
	s_nop 0
	s_load_b32 s54, s[54:55], 0x0
	s_wait_xcnt 0x0
	s_add_nc_u64 s[52:53], s[52:53], 4
	s_wait_loadcnt 0x6
	v_dual_fmac_f32 v20, s11, v27 :: v_dual_fmac_f32 v21, s12, v29
	s_delay_alu instid0(VALU_DEP_1) | instskip(SKIP_1) | instid1(VALU_DEP_2)
	v_fma_f32 v20, -v12, s61, v20
	s_wait_kmcnt 0x0
	v_fma_f32 v21, -v13, s59, v21
	s_delay_alu instid0(VALU_DEP_1) | instskip(NEXT) | instid1(VALU_DEP_1)
	v_dual_fma_f32 v20, -s12, v28, v20 :: v_dual_fmac_f32 v21, s16, v28
	v_fmac_f32_e32 v20, s58, v13
	s_delay_alu instid0(VALU_DEP_1) | instskip(NEXT) | instid1(VALU_DEP_1)
	v_fmac_f32_e32 v20, s16, v29
	v_fma_f32 v20, -v14, s59, v20
	s_wait_loadcnt 0x5
	s_delay_alu instid0(VALU_DEP_1) | instskip(NEXT) | instid1(VALU_DEP_1)
	v_fma_f32 v20, -s13, v30, v20
	v_dual_fma_f32 v21, -s58, v14, v21 :: v_dual_fmac_f32 v20, s60, v15
	s_wait_loadcnt 0x4
	s_delay_alu instid0(VALU_DEP_1) | instskip(NEXT) | instid1(VALU_DEP_1)
	v_fmac_f32_e32 v21, s13, v31
	v_fma_f32 v21, -v15, s56, v21
	s_delay_alu instid0(VALU_DEP_1) | instskip(NEXT) | instid1(VALU_DEP_1)
	v_dual_fmac_f32 v20, s17, v31 :: v_dual_fmac_f32 v21, s17, v30
	v_fma_f32 v20, -v16, s56, v20
	s_wait_loadcnt 0x3
	s_delay_alu instid0(VALU_DEP_1) | instskip(NEXT) | instid1(VALU_DEP_1)
	v_fma_f32 v20, -s14, v32, v20
	v_dual_fmac_f32 v20, s54, v17 :: v_dual_fma_f32 v21, -s60, v16, v21
	s_wait_loadcnt 0x2
	s_delay_alu instid0(VALU_DEP_1) | instskip(NEXT) | instid1(VALU_DEP_1)
	v_dual_fmac_f32 v20, s18, v19 :: v_dual_fmac_f32 v21, s14, v19
	v_fma_f32 v19, -v18, s57, v20
	s_delay_alu instid0(VALU_DEP_2) | instskip(SKIP_1) | instid1(VALU_DEP_2)
	v_fma_f32 v21, -v17, s57, v21
	s_wait_loadcnt 0x0
	v_add_f32_e32 v19, v19, v36
	s_delay_alu instid0(VALU_DEP_2) | instskip(NEXT) | instid1(VALU_DEP_1)
	v_fmac_f32_e32 v21, s18, v32
	v_fma_f32 v20, -s54, v18, v21
	s_delay_alu instid0(VALU_DEP_1)
	v_add_f32_e32 v20, v20, v35
	s_clause 0x1
	global_store_b32 v33, v20, s[6:7] scale_offset
	global_store_b32 v34, v19, s[6:7] scale_offset
	s_cbranch_scc1 .LBB5_2
; %bb.3:                                ;   in Loop: Header=BB5_1 Depth=1
	v_add_nc_u32_e32 v4, 0x70, v4
	s_add_co_i32 s19, s19, 1
	s_delay_alu instid0(SALU_CYCLE_1)
	s_cmp_eq_u32 s19, 7
	s_cbranch_scc0 .LBB5_1
; %bb.4:
	s_endpgm
	.section	.rodata,"a",@progbits
	.p2align	6, 0x0
	.amdhsa_kernel _Z26comm_aosoa_naive_constantsPK15HIP_vector_typeIfLj2EEPS0_S2_i
		.amdhsa_group_segment_fixed_size 0
		.amdhsa_private_segment_fixed_size 0
		.amdhsa_kernarg_size 288
		.amdhsa_user_sgpr_count 2
		.amdhsa_user_sgpr_dispatch_ptr 0
		.amdhsa_user_sgpr_queue_ptr 0
		.amdhsa_user_sgpr_kernarg_segment_ptr 1
		.amdhsa_user_sgpr_dispatch_id 0
		.amdhsa_user_sgpr_kernarg_preload_length 0
		.amdhsa_user_sgpr_kernarg_preload_offset 0
		.amdhsa_user_sgpr_private_segment_size 0
		.amdhsa_wavefront_size32 1
		.amdhsa_uses_dynamic_stack 0
		.amdhsa_enable_private_segment 0
		.amdhsa_system_sgpr_workgroup_id_x 1
		.amdhsa_system_sgpr_workgroup_id_y 0
		.amdhsa_system_sgpr_workgroup_id_z 0
		.amdhsa_system_sgpr_workgroup_info 0
		.amdhsa_system_vgpr_workitem_id 0
		.amdhsa_next_free_vgpr 39
		.amdhsa_next_free_sgpr 62
		.amdhsa_named_barrier_count 0
		.amdhsa_reserve_vcc 0
		.amdhsa_float_round_mode_32 0
		.amdhsa_float_round_mode_16_64 0
		.amdhsa_float_denorm_mode_32 3
		.amdhsa_float_denorm_mode_16_64 3
		.amdhsa_fp16_overflow 0
		.amdhsa_memory_ordered 1
		.amdhsa_forward_progress 1
		.amdhsa_inst_pref_size 15
		.amdhsa_round_robin_scheduling 0
		.amdhsa_exception_fp_ieee_invalid_op 0
		.amdhsa_exception_fp_denorm_src 0
		.amdhsa_exception_fp_ieee_div_zero 0
		.amdhsa_exception_fp_ieee_overflow 0
		.amdhsa_exception_fp_ieee_underflow 0
		.amdhsa_exception_fp_ieee_inexact 0
		.amdhsa_exception_int_div_zero 0
	.end_amdhsa_kernel
	.text
.Lfunc_end5:
	.size	_Z26comm_aosoa_naive_constantsPK15HIP_vector_typeIfLj2EEPS0_S2_i, .Lfunc_end5-_Z26comm_aosoa_naive_constantsPK15HIP_vector_typeIfLj2EEPS0_S2_i
                                        ; -- End function
	.set _Z26comm_aosoa_naive_constantsPK15HIP_vector_typeIfLj2EEPS0_S2_i.num_vgpr, 39
	.set _Z26comm_aosoa_naive_constantsPK15HIP_vector_typeIfLj2EEPS0_S2_i.num_agpr, 0
	.set _Z26comm_aosoa_naive_constantsPK15HIP_vector_typeIfLj2EEPS0_S2_i.numbered_sgpr, 62
	.set _Z26comm_aosoa_naive_constantsPK15HIP_vector_typeIfLj2EEPS0_S2_i.num_named_barrier, 0
	.set _Z26comm_aosoa_naive_constantsPK15HIP_vector_typeIfLj2EEPS0_S2_i.private_seg_size, 0
	.set _Z26comm_aosoa_naive_constantsPK15HIP_vector_typeIfLj2EEPS0_S2_i.uses_vcc, 0
	.set _Z26comm_aosoa_naive_constantsPK15HIP_vector_typeIfLj2EEPS0_S2_i.uses_flat_scratch, 0
	.set _Z26comm_aosoa_naive_constantsPK15HIP_vector_typeIfLj2EEPS0_S2_i.has_dyn_sized_stack, 0
	.set _Z26comm_aosoa_naive_constantsPK15HIP_vector_typeIfLj2EEPS0_S2_i.has_recursion, 0
	.set _Z26comm_aosoa_naive_constantsPK15HIP_vector_typeIfLj2EEPS0_S2_i.has_indirect_call, 0
	.section	.AMDGPU.csdata,"",@progbits
; Kernel info:
; codeLenInByte = 1840
; TotalNumSgprs: 62
; NumVgprs: 39
; ScratchSize: 0
; MemoryBound: 0
; FloatMode: 240
; IeeeMode: 1
; LDSByteSize: 0 bytes/workgroup (compile time only)
; SGPRBlocks: 0
; VGPRBlocks: 2
; NumSGPRsForWavesPerEU: 62
; NumVGPRsForWavesPerEU: 39
; NamedBarCnt: 0
; Occupancy: 16
; WaveLimiterHint : 0
; COMPUTE_PGM_RSRC2:SCRATCH_EN: 0
; COMPUTE_PGM_RSRC2:USER_SGPR: 2
; COMPUTE_PGM_RSRC2:TRAP_HANDLER: 0
; COMPUTE_PGM_RSRC2:TGID_X_EN: 1
; COMPUTE_PGM_RSRC2:TGID_Y_EN: 0
; COMPUTE_PGM_RSRC2:TGID_Z_EN: 0
; COMPUTE_PGM_RSRC2:TIDIG_COMP_CNT: 0
	.text
	.protected	_Z31comm_aosoa_naive_constants_permPK15HIP_vector_typeIfLj2EEPS0_S2_ ; -- Begin function _Z31comm_aosoa_naive_constants_permPK15HIP_vector_typeIfLj2EEPS0_S2_
	.globl	_Z31comm_aosoa_naive_constants_permPK15HIP_vector_typeIfLj2EEPS0_S2_
	.p2align	8
	.type	_Z31comm_aosoa_naive_constants_permPK15HIP_vector_typeIfLj2EEPS0_S2_,@function
_Z31comm_aosoa_naive_constants_permPK15HIP_vector_typeIfLj2EEPS0_S2_: ; @_Z31comm_aosoa_naive_constants_permPK15HIP_vector_typeIfLj2EEPS0_S2_
; %bb.0:
	s_load_b32 s2, s[0:1], 0x24
	s_bfe_u32 s3, ttmp6, 0x4000c
	s_and_b32 s4, ttmp6, 15
	s_add_co_i32 s3, s3, 1
	s_getreg_b32 s5, hwreg(HW_REG_IB_STS2, 6, 4)
	s_mul_i32 s3, ttmp9, s3
	s_mov_b64 s[22:23], 0xc4
	s_add_co_i32 s4, s4, s3
	s_mov_b64 s[24:25], 0xffffffffffffff3c
	s_mov_b32 s15, 0
	s_wait_kmcnt 0x0
	s_and_b32 s2, s2, 0xffff
	s_cmp_eq_u32 s5, 0
	s_cselect_b32 s3, ttmp9, s4
	s_clause 0x1
	s_load_b128 s[4:7], s[0:1], 0x0
	s_load_b64 s[20:21], s[0:1], 0x10
	v_mad_u32 v28, s3, s2, v0
	s_delay_alu instid0(VALU_DEP_1) | instskip(NEXT) | instid1(VALU_DEP_1)
	v_dual_mov_b32 v33, v28 :: v_dual_ashrrev_i32 v0, 31, v28
	v_lshrrev_b32_e32 v0, 29, v0
	s_delay_alu instid0(VALU_DEP_1) | instskip(NEXT) | instid1(VALU_DEP_1)
	v_add_nc_u32_e32 v0, v28, v0
	v_dual_ashrrev_i32 v1, 3, v0 :: v_dual_bitop2_b32 v0, -8, v0 bitop3:0x40
	s_delay_alu instid0(VALU_DEP_1) | instskip(SKIP_1) | instid1(VALU_DEP_3)
	v_mul_lo_u32 v29, 0x310, v1
	v_mul_lo_u32 v31, 0x308, v1
	v_sub_nc_u32_e32 v30, v28, v0
	s_delay_alu instid0(VALU_DEP_1)
	v_add_nc_u32_e32 v32, 8, v30
.LBB6_1:                                ; =>This Loop Header: Depth=1
                                        ;     Child Loop BB6_2 Depth 2
	s_delay_alu instid0(VALU_DEP_4) | instskip(SKIP_3) | instid1(VALU_DEP_2)
	v_mad_u32 v18, 0x70, s15, v29
	v_mov_b32_e32 v35, v28
	s_mov_b64 s[26:27], 0
	s_mov_b64 s[28:29], s[22:23]
	v_dual_mov_b32 v34, v33 :: v_dual_add_nc_u32 v21, 0x50, v18
	v_dual_add_nc_u32 v2, v32, v18 :: v_dual_add_nc_u32 v5, 16, v18
	v_add_nc_u32_e32 v0, v18, v30
	v_dual_add_nc_u32 v7, 32, v18 :: v_dual_add_nc_u32 v9, 48, v18
	v_add_nc_u32_e32 v23, 0x60, v18
	s_delay_alu instid0(VALU_DEP_4) | instskip(NEXT) | instid1(VALU_DEP_4)
	v_add_nc_u32_e32 v4, v5, v30
	v_dual_add_nc_u32 v19, 64, v18 :: v_dual_ashrrev_i32 v1, 31, v0
	v_dual_ashrrev_i32 v3, 31, v2 :: v_dual_add_nc_u32 v6, v32, v5
	v_dual_add_nc_u32 v8, v7, v30 :: v_dual_add_nc_u32 v10, v32, v7
	v_dual_add_nc_u32 v12, v9, v30 :: v_dual_add_nc_u32 v14, v32, v9
	s_delay_alu instid0(VALU_DEP_4) | instskip(SKIP_3) | instid1(VALU_DEP_2)
	v_dual_add_nc_u32 v16, v19, v30 :: v_dual_ashrrev_i32 v5, 31, v4
	v_dual_add_nc_u32 v18, v32, v19 :: v_dual_add_nc_u32 v20, v21, v30
	s_wait_xcnt 0x0
	v_dual_add_nc_u32 v22, v32, v21 :: v_dual_add_nc_u32 v24, v23, v30
	v_dual_add_nc_u32 v26, v32, v23 :: v_dual_ashrrev_i32 v19, 31, v18
	v_dual_ashrrev_i32 v7, 31, v6 :: v_dual_ashrrev_i32 v9, 31, v8
	v_dual_ashrrev_i32 v11, 31, v10 :: v_dual_ashrrev_i32 v13, 31, v12
	;; [unrolled: 1-line block ×5, first 2 shown]
	s_wait_kmcnt 0x0
	v_lshl_add_u64 v[0:1], v[0:1], 2, s[6:7]
	v_lshl_add_u64 v[2:3], v[2:3], 2, s[6:7]
	v_lshl_add_u64 v[4:5], v[4:5], 2, s[6:7]
	v_lshl_add_u64 v[6:7], v[6:7], 2, s[6:7]
	v_lshl_add_u64 v[8:9], v[8:9], 2, s[6:7]
	v_lshl_add_u64 v[10:11], v[10:11], 2, s[6:7]
	v_lshl_add_u64 v[12:13], v[12:13], 2, s[6:7]
	v_lshl_add_u64 v[14:15], v[14:15], 2, s[6:7]
	v_lshl_add_u64 v[16:17], v[16:17], 2, s[6:7]
	v_lshl_add_u64 v[18:19], v[18:19], 2, s[6:7]
	v_lshl_add_u64 v[20:21], v[20:21], 2, s[6:7]
	v_lshl_add_u64 v[22:23], v[22:23], 2, s[6:7]
	v_lshl_add_u64 v[24:25], v[24:25], 2, s[6:7]
	v_lshl_add_u64 v[26:27], v[26:27], 2, s[6:7]
.LBB6_2:                                ;   Parent Loop BB6_1 Depth=1
                                        ; =>  This Inner Loop Header: Depth=2
	s_wait_xcnt 0x0
	v_dual_add_nc_u32 v36, v31, v35 :: v_dual_add_nc_u32 v37, v31, v34
	s_clause 0x1
	global_load_b32 v38, v[0:1], off
	global_load_b32 v39, v[2:3], off
	s_add_nc_u64 s[34:35], s[20:21], s[28:29]
	s_add_nc_u64 s[36:37], s[20:21], s[26:27]
	v_add_nc_u32_e32 v40, 8, v36
	global_load_b32 v41, v37, s[4:5] scale_offset
	s_wait_xcnt 0x0
	v_add_nc_u32_e32 v37, 8, v37
	s_add_nc_u64 s[38:39], s[34:35], s[24:25]
	v_dual_add_nc_u32 v45, 32, v36 :: v_dual_add_nc_u32 v46, 40, v36
	s_clause 0x2
	global_load_b32 v42, v40, s[4:5] scale_offset
	global_load_b32 v43, v36, s[4:5] scale_offset
	;; [unrolled: 1-line block ×3, first 2 shown]
	s_clause 0x5
	s_load_b128 s[0:3], s[36:37], 0x0
	s_load_b96 s[12:14], s[36:37], 0x10
	s_load_b96 s[16:18], s[36:37], 0xd4
	s_load_b128 s[8:11], s[36:37], 0xc4
	s_load_b32 s30, s[38:39], 0x0
	s_load_b32 s19, s[34:35], 0x0
	v_dual_add_nc_u32 v37, 16, v36 :: v_dual_add_nc_u32 v40, 24, v36
	v_dual_add_nc_u32 v49, 64, v36 :: v_dual_add_nc_u32 v47, 48, v36
	v_add_nc_u32_e32 v48, 56, v36
	v_add_nc_u32_e32 v35, 0x70, v35
	s_add_nc_u64 s[26:27], s[26:27], 28
	s_add_nc_u64 s[28:29], s[28:29], 4
	s_cmp_eq_u32 s26, 0xc4
	v_add_nc_u32_e32 v34, 16, v34
	s_wait_loadcnt 0x2
	s_wait_kmcnt 0x0
	v_fmac_f32_e32 v38, s30, v42
	s_clause 0x6
	global_load_b32 v50, v37, s[4:5] scale_offset
	global_load_b32 v51, v40, s[4:5] scale_offset
	;; [unrolled: 1-line block ×7, first 2 shown]
	v_fma_f32 v38, -v41, s8, v38
	s_wait_loadcnt 0x8
	s_wait_xcnt 0x6
	s_delay_alu instid0(VALU_DEP_1) | instskip(NEXT) | instid1(VALU_DEP_1)
	v_dual_fma_f32 v37, -s30, v43, v39 :: v_dual_fmac_f32 v38, s19, v43
	v_fmac_f32_e32 v37, s0, v41
	v_add_nc_u32_e32 v43, 0x60, v36
	s_wait_loadcnt 0x7
	s_delay_alu instid0(VALU_DEP_3) | instskip(NEXT) | instid1(VALU_DEP_3)
	v_fma_f32 v38, -v44, s0, v38
	v_dual_fmac_f32 v37, s19, v42 :: v_dual_add_nc_u32 v42, 0x58, v36
	s_delay_alu instid0(VALU_DEP_1)
	v_fma_f32 v37, -v44, s8, v37
	s_clause 0x3
	global_store_b32 v[0:1], v38, off
	global_store_b32 v[2:3], v37, off
	global_load_b32 v37, v[4:5], off
	global_load_b32 v38, v[6:7], off
	s_wait_loadcnt 0x0
	v_fma_f32 v38, -s30, v50, v38
	s_delay_alu instid0(VALU_DEP_1) | instskip(NEXT) | instid1(VALU_DEP_1)
	v_dual_fmac_f32 v38, s1, v41 :: v_dual_fmac_f32 v37, s30, v51
	v_fmac_f32_e32 v38, s19, v51
	s_delay_alu instid0(VALU_DEP_2) | instskip(NEXT) | instid1(VALU_DEP_2)
	v_fma_f32 v37, -v41, s9, v37
	v_fma_f32 v38, -v44, s9, v38
	s_delay_alu instid0(VALU_DEP_2) | instskip(NEXT) | instid1(VALU_DEP_1)
	v_fmac_f32_e32 v37, s19, v50
	v_fma_f32 v37, -v44, s1, v37
	s_clause 0x3
	global_store_b32 v[4:5], v37, off
	global_store_b32 v[6:7], v38, off
	global_load_b32 v37, v[8:9], off
	global_load_b32 v38, v[10:11], off
	s_wait_loadcnt 0x0
	v_fma_f32 v38, -s30, v52, v38
	s_delay_alu instid0(VALU_DEP_1) | instskip(NEXT) | instid1(VALU_DEP_1)
	v_fmac_f32_e32 v38, s2, v41
	v_dual_fmac_f32 v37, s30, v53 :: v_dual_fmac_f32 v38, s19, v53
	s_delay_alu instid0(VALU_DEP_1) | instskip(NEXT) | instid1(VALU_DEP_2)
	v_fma_f32 v37, -v41, s10, v37
	v_fma_f32 v38, -v44, s10, v38
	s_delay_alu instid0(VALU_DEP_2) | instskip(NEXT) | instid1(VALU_DEP_1)
	v_fmac_f32_e32 v37, s19, v52
	v_fma_f32 v37, -v44, s2, v37
	s_clause 0x3
	global_store_b32 v[8:9], v37, off
	global_store_b32 v[10:11], v38, off
	global_load_b32 v37, v[12:13], off
	global_load_b32 v38, v[14:15], off
	s_wait_loadcnt 0x0
	v_dual_fmac_f32 v37, s30, v55 :: v_dual_fma_f32 v38, -s30, v54, v38
	v_add_nc_u32_e32 v39, 0x48, v36
	s_delay_alu instid0(VALU_DEP_2) | instskip(NEXT) | instid1(VALU_DEP_3)
	v_fma_f32 v37, -v41, s11, v37
	v_fmac_f32_e32 v38, s3, v41
	global_load_b32 v39, v39, s[4:5] scale_offset
	v_dual_fmac_f32 v37, s19, v54 :: v_dual_fmac_f32 v38, s19, v55
	s_delay_alu instid0(VALU_DEP_1) | instskip(NEXT) | instid1(VALU_DEP_2)
	v_fma_f32 v37, -v44, s3, v37
	v_fma_f32 v38, -v44, s11, v38
	s_clause 0x3
	global_store_b32 v[12:13], v37, off
	global_store_b32 v[14:15], v38, off
	global_load_b32 v37, v[16:17], off
	global_load_b32 v38, v[18:19], off
	v_add_nc_u32_e32 v40, 0x50, v36
	s_wait_loadcnt 0x1
	v_dual_fmac_f32 v37, s30, v39 :: v_dual_add_nc_u32 v36, 0x68, v36
	s_clause 0x3
	global_load_b32 v45, v40, s[4:5] scale_offset
	global_load_b32 v46, v42, s[4:5] scale_offset
	global_load_b32 v47, v43, s[4:5] scale_offset
	global_load_b32 v48, v36, s[4:5] scale_offset
	v_fma_f32 v37, -v41, s16, v37
	s_wait_loadcnt 0x4
	s_wait_xcnt 0x0
	s_delay_alu instid0(VALU_DEP_1) | instskip(NEXT) | instid1(VALU_DEP_1)
	v_dual_fma_f32 v36, -s30, v56, v38 :: v_dual_fmac_f32 v37, s19, v56
	v_fmac_f32_e32 v36, s12, v41
	s_delay_alu instid0(VALU_DEP_2) | instskip(NEXT) | instid1(VALU_DEP_2)
	v_fma_f32 v37, -v44, s12, v37
	v_fmac_f32_e32 v36, s19, v39
	s_delay_alu instid0(VALU_DEP_1)
	v_fma_f32 v36, -v44, s16, v36
	s_clause 0x3
	global_store_b32 v[16:17], v37, off
	global_store_b32 v[18:19], v36, off
	global_load_b32 v36, v[20:21], off
	global_load_b32 v37, v[22:23], off
	s_wait_loadcnt 0x0
	v_dual_fmac_f32 v36, s30, v46 :: v_dual_fma_f32 v37, -s30, v45, v37
	s_delay_alu instid0(VALU_DEP_1) | instskip(NEXT) | instid1(VALU_DEP_2)
	v_fma_f32 v36, -v41, s17, v36
	v_fmac_f32_e32 v37, s13, v41
	s_delay_alu instid0(VALU_DEP_1) | instskip(NEXT) | instid1(VALU_DEP_1)
	v_dual_fmac_f32 v36, s19, v45 :: v_dual_fmac_f32 v37, s19, v46
	v_fma_f32 v36, -v44, s13, v36
	s_delay_alu instid0(VALU_DEP_2)
	v_fma_f32 v37, -v44, s17, v37
	s_clause 0x3
	global_store_b32 v[20:21], v36, off
	global_store_b32 v[22:23], v37, off
	global_load_b32 v36, v[24:25], off
	global_load_b32 v37, v[26:27], off
	s_wait_loadcnt 0x0
	v_dual_fma_f32 v37, -s30, v47, v37 :: v_dual_fmac_f32 v36, s30, v48
	s_delay_alu instid0(VALU_DEP_1) | instskip(NEXT) | instid1(VALU_DEP_2)
	v_fmac_f32_e32 v37, s14, v41
	v_fma_f32 v36, -v41, s18, v36
	s_delay_alu instid0(VALU_DEP_1) | instskip(NEXT) | instid1(VALU_DEP_1)
	v_dual_fmac_f32 v37, s19, v48 :: v_dual_fmac_f32 v36, s19, v47
	v_fma_f32 v37, -v44, s18, v37
	s_delay_alu instid0(VALU_DEP_2)
	v_fma_f32 v36, -v44, s14, v36
	s_clause 0x1
	global_store_b32 v[24:25], v36, off
	global_store_b32 v[26:27], v37, off
	s_cbranch_scc0 .LBB6_2
; %bb.3:                                ;   in Loop: Header=BB6_1 Depth=1
	v_add_nc_u32_e32 v33, 0x70, v33
	s_add_co_i32 s15, s15, 1
	s_add_nc_u64 s[22:23], s[22:23], 28
	s_cmp_eq_u32 s15, 7
	s_cbranch_scc0 .LBB6_1
; %bb.4:
	s_endpgm
	.section	.rodata,"a",@progbits
	.p2align	6, 0x0
	.amdhsa_kernel _Z31comm_aosoa_naive_constants_permPK15HIP_vector_typeIfLj2EEPS0_S2_
		.amdhsa_group_segment_fixed_size 0
		.amdhsa_private_segment_fixed_size 0
		.amdhsa_kernarg_size 280
		.amdhsa_user_sgpr_count 2
		.amdhsa_user_sgpr_dispatch_ptr 0
		.amdhsa_user_sgpr_queue_ptr 0
		.amdhsa_user_sgpr_kernarg_segment_ptr 1
		.amdhsa_user_sgpr_dispatch_id 0
		.amdhsa_user_sgpr_kernarg_preload_length 0
		.amdhsa_user_sgpr_kernarg_preload_offset 0
		.amdhsa_user_sgpr_private_segment_size 0
		.amdhsa_wavefront_size32 1
		.amdhsa_uses_dynamic_stack 0
		.amdhsa_enable_private_segment 0
		.amdhsa_system_sgpr_workgroup_id_x 1
		.amdhsa_system_sgpr_workgroup_id_y 0
		.amdhsa_system_sgpr_workgroup_id_z 0
		.amdhsa_system_sgpr_workgroup_info 0
		.amdhsa_system_vgpr_workitem_id 0
		.amdhsa_next_free_vgpr 57
		.amdhsa_next_free_sgpr 40
		.amdhsa_named_barrier_count 0
		.amdhsa_reserve_vcc 0
		.amdhsa_float_round_mode_32 0
		.amdhsa_float_round_mode_16_64 0
		.amdhsa_float_denorm_mode_32 3
		.amdhsa_float_denorm_mode_16_64 3
		.amdhsa_fp16_overflow 0
		.amdhsa_memory_ordered 1
		.amdhsa_forward_progress 1
		.amdhsa_inst_pref_size 15
		.amdhsa_round_robin_scheduling 0
		.amdhsa_exception_fp_ieee_invalid_op 0
		.amdhsa_exception_fp_denorm_src 0
		.amdhsa_exception_fp_ieee_div_zero 0
		.amdhsa_exception_fp_ieee_overflow 0
		.amdhsa_exception_fp_ieee_underflow 0
		.amdhsa_exception_fp_ieee_inexact 0
		.amdhsa_exception_int_div_zero 0
	.end_amdhsa_kernel
	.text
.Lfunc_end6:
	.size	_Z31comm_aosoa_naive_constants_permPK15HIP_vector_typeIfLj2EEPS0_S2_, .Lfunc_end6-_Z31comm_aosoa_naive_constants_permPK15HIP_vector_typeIfLj2EEPS0_S2_
                                        ; -- End function
	.set _Z31comm_aosoa_naive_constants_permPK15HIP_vector_typeIfLj2EEPS0_S2_.num_vgpr, 57
	.set _Z31comm_aosoa_naive_constants_permPK15HIP_vector_typeIfLj2EEPS0_S2_.num_agpr, 0
	.set _Z31comm_aosoa_naive_constants_permPK15HIP_vector_typeIfLj2EEPS0_S2_.numbered_sgpr, 40
	.set _Z31comm_aosoa_naive_constants_permPK15HIP_vector_typeIfLj2EEPS0_S2_.num_named_barrier, 0
	.set _Z31comm_aosoa_naive_constants_permPK15HIP_vector_typeIfLj2EEPS0_S2_.private_seg_size, 0
	.set _Z31comm_aosoa_naive_constants_permPK15HIP_vector_typeIfLj2EEPS0_S2_.uses_vcc, 0
	.set _Z31comm_aosoa_naive_constants_permPK15HIP_vector_typeIfLj2EEPS0_S2_.uses_flat_scratch, 0
	.set _Z31comm_aosoa_naive_constants_permPK15HIP_vector_typeIfLj2EEPS0_S2_.has_dyn_sized_stack, 0
	.set _Z31comm_aosoa_naive_constants_permPK15HIP_vector_typeIfLj2EEPS0_S2_.has_recursion, 0
	.set _Z31comm_aosoa_naive_constants_permPK15HIP_vector_typeIfLj2EEPS0_S2_.has_indirect_call, 0
	.section	.AMDGPU.csdata,"",@progbits
; Kernel info:
; codeLenInByte = 1816
; TotalNumSgprs: 40
; NumVgprs: 57
; ScratchSize: 0
; MemoryBound: 0
; FloatMode: 240
; IeeeMode: 1
; LDSByteSize: 0 bytes/workgroup (compile time only)
; SGPRBlocks: 0
; VGPRBlocks: 3
; NumSGPRsForWavesPerEU: 40
; NumVGPRsForWavesPerEU: 57
; NamedBarCnt: 0
; Occupancy: 16
; WaveLimiterHint : 1
; COMPUTE_PGM_RSRC2:SCRATCH_EN: 0
; COMPUTE_PGM_RSRC2:USER_SGPR: 2
; COMPUTE_PGM_RSRC2:TRAP_HANDLER: 0
; COMPUTE_PGM_RSRC2:TGID_X_EN: 1
; COMPUTE_PGM_RSRC2:TGID_Y_EN: 0
; COMPUTE_PGM_RSRC2:TGID_Z_EN: 0
; COMPUTE_PGM_RSRC2:TIDIG_COMP_CNT: 0
	.text
	.protected	_Z23comm_aosoa_naive_directPK15HIP_vector_typeIfLj2EEPS0_S2_i ; -- Begin function _Z23comm_aosoa_naive_directPK15HIP_vector_typeIfLj2EEPS0_S2_i
	.globl	_Z23comm_aosoa_naive_directPK15HIP_vector_typeIfLj2EEPS0_S2_i
	.p2align	8
	.type	_Z23comm_aosoa_naive_directPK15HIP_vector_typeIfLj2EEPS0_S2_i,@function
_Z23comm_aosoa_naive_directPK15HIP_vector_typeIfLj2EEPS0_S2_i: ; @_Z23comm_aosoa_naive_directPK15HIP_vector_typeIfLj2EEPS0_S2_i
; %bb.0:
	s_load_b32 s2, s[0:1], 0x18
	s_wait_kmcnt 0x0
	s_cmp_lt_i32 s2, 1
	s_cbranch_scc1 .LBB7_7
; %bb.1:
	s_load_b32 s3, s[0:1], 0x2c
	s_bfe_u32 s4, ttmp6, 0x4000c
	s_and_b32 s5, ttmp6, 15
	s_add_co_i32 s4, s4, 1
	s_getreg_b32 s6, hwreg(HW_REG_IB_STS2, 6, 4)
	s_mul_i32 s4, ttmp9, s4
	s_lshl_b32 s20, s2, 4
	s_add_co_i32 s5, s5, s4
	s_mul_i32 s21, s2, s2
	s_delay_alu instid0(SALU_CYCLE_1) | instskip(SKIP_4) | instid1(SALU_CYCLE_1)
	s_mov_b32 s22, s21
	s_wait_kmcnt 0x0
	s_and_b32 s3, s3, 0xffff
	s_cmp_eq_u32 s6, 0
	s_cselect_b32 s4, ttmp9, s5
	v_mad_u32 v6, s4, s3, v0
	s_clause 0x1
	s_load_b64 s[8:9], s[0:1], 0x10
	s_load_b128 s[4:7], s[0:1], 0x0
	s_wait_xcnt 0x0
	s_lshl_b32 s0, s21, 4
	s_mul_i32 s1, s20, s2
	s_add_co_i32 s0, s0, -8
	s_mov_b32 s3, 0
	s_delay_alu instid0(VALU_DEP_1) | instskip(NEXT) | instid1(VALU_DEP_1)
	v_dual_mov_b32 v11, v6 :: v_dual_ashrrev_i32 v0, 31, v6
	v_lshrrev_b32_e32 v0, 29, v0
	s_wait_kmcnt 0x0
	s_mov_b64 s[10:11], s[8:9]
	s_delay_alu instid0(VALU_DEP_1) | instskip(NEXT) | instid1(VALU_DEP_1)
	v_add_nc_u32_e32 v0, v6, v0
	v_dual_ashrrev_i32 v1, 3, v0 :: v_dual_bitop2_b32 v0, -8, v0 bitop3:0x40
	s_delay_alu instid0(VALU_DEP_1) | instskip(SKIP_1) | instid1(VALU_DEP_3)
	v_mul_lo_u32 v7, s1, v1
	v_mul_lo_u32 v9, v1, s0
	v_sub_nc_u32_e32 v8, v6, v0
	s_lshl_b64 s[0:1], s[2:3], 2
	s_delay_alu instid0(VALU_DEP_1)
	v_add_nc_u32_e32 v10, 8, v8
.LBB7_2:                                ; =>This Loop Header: Depth=1
                                        ;     Child Loop BB7_3 Depth 2
                                        ;       Child Loop BB7_4 Depth 3
	v_mov_b32_e32 v12, v6
	s_mul_i32 s23, s3, s2
	s_mov_b64 s[12:13], s[8:9]
	s_mov_b32 s24, s21
	s_mov_b32 s25, 0
.LBB7_3:                                ;   Parent Loop BB7_2 Depth=1
                                        ; =>  This Loop Header: Depth=2
                                        ;       Child Loop BB7_4 Depth 3
	s_delay_alu instid0(SALU_CYCLE_1)
	s_add_co_i32 s14, s25, s23
	v_dual_mov_b32 v13, v11 :: v_dual_mov_b32 v14, v12
	s_wait_xcnt 0x1
	v_lshl_add_u32 v1, s14, 4, v7
	s_mov_b32 s26, 0
	s_mov_b64 s[14:15], s[10:11]
	s_mov_b64 s[16:17], s[12:13]
	s_mov_b32 s18, s24
	s_wait_xcnt 0x0
	v_dual_add_nc_u32 v0, v10, v1 :: v_dual_add_nc_u32 v2, v1, v8
	s_clause 0x1
	global_load_b32 v4, v0, s[6:7] scale_offset
	global_load_b32 v5, v2, s[6:7] scale_offset
	v_dual_ashrrev_i32 v1, 31, v0 :: v_dual_ashrrev_i32 v3, 31, v2
	s_wait_xcnt 0x1
	s_delay_alu instid0(VALU_DEP_1) | instskip(SKIP_1) | instid1(VALU_DEP_2)
	v_lshl_add_u64 v[0:1], v[0:1], 2, s[6:7]
	s_wait_xcnt 0x0
	v_lshl_add_u64 v[2:3], v[2:3], 2, s[6:7]
.LBB7_4:                                ;   Parent Loop BB7_2 Depth=1
                                        ;     Parent Loop BB7_3 Depth=2
                                        ; =>    This Inner Loop Header: Depth=3
	s_wait_xcnt 0x0
	v_dual_add_nc_u32 v15, v9, v14 :: v_dual_add_nc_u32 v19, v9, v13
	s_ashr_i32 s19, s18, 31
	v_add_nc_u32_e32 v13, 16, v13
	s_lshl_b64 s[34:35], s[18:19], 2
	s_delay_alu instid0(VALU_DEP_2)
	v_add_nc_u32_e32 v20, 8, v15
	s_add_nc_u64 s[34:35], s[8:9], s[34:35]
	s_add_co_i32 s19, s22, s26
	s_clause 0x2
	global_load_b32 v16, v15, s[4:5] scale_offset
	global_load_b32 v18, v19, s[4:5] scale_offset
	;; [unrolled: 1-line block ×3, first 2 shown]
	s_wait_xcnt 0x2
	v_add_nc_u32_e32 v15, 8, v19
	s_load_b32 s30, s[16:17], 0x0
	s_load_b32 s31, s[34:35], 0x0
	;; [unrolled: 1-line block ×3, first 2 shown]
	s_add_co_i32 s26, s26, 1
	s_wait_xcnt 0x0
	s_load_b32 s34, s[8:9], s19 offset:0x0 scale_offset
	s_add_co_i32 s18, s18, s2
	s_add_nc_u64 s[16:17], s[16:17], s[0:1]
	s_cmp_eq_u32 s2, s26
	s_add_nc_u64 s[14:15], s[14:15], 4
	v_add_nc_u32_e32 v14, s20, v14
	s_wait_kmcnt 0x0
	v_mov_b64_e32 v[22:23], s[30:31]
	s_wait_loadcnt 0x0
	v_dual_mov_b32 v27, v16 :: v_dual_mov_b32 v26, v17
	global_load_b32 v20, v15, s[4:5] scale_offset
	v_pk_fma_f32 v[24:25], s[28:29], v[16:17], v[4:5] op_sel_hi:[0,1,1]
	v_pk_fma_f32 v[4:5], s[28:29], v[16:17], v[4:5] op_sel_hi:[0,1,1] neg_lo:[1,0,0] neg_hi:[1,0,0]
	v_dual_mov_b32 v16, s31 :: v_dual_mov_b32 v17, s30
	s_delay_alu instid0(VALU_DEP_3) | instskip(NEXT) | instid1(VALU_DEP_3)
	v_pk_fma_f32 v[24:25], v[18:19], v[22:23], v[24:25] op_sel_hi:[0,1,1] neg_lo:[1,0,0] neg_hi:[1,0,0]
	v_pk_fma_f32 v[4:5], v[18:19], v[22:23], v[4:5] op_sel_hi:[0,1,1]
	s_delay_alu instid0(VALU_DEP_2) | instskip(NEXT) | instid1(VALU_DEP_1)
	v_mov_b32_e32 v5, v25
	v_pk_fma_f32 v[4:5], s[34:35], v[26:27], v[4:5] op_sel_hi:[0,1,1]
	s_wait_loadcnt 0x0
	s_delay_alu instid0(VALU_DEP_1)
	v_pk_fma_f32 v[4:5], v[20:21], v[16:17], v[4:5] op_sel_hi:[0,1,1] neg_lo:[1,0,0] neg_hi:[1,0,0]
	s_cbranch_scc0 .LBB7_4
; %bb.5:                                ;   in Loop: Header=BB7_3 Depth=2
	v_add_nc_u32_e32 v12, 16, v12
	s_add_co_i32 s25, s25, 1
	s_add_co_i32 s24, s24, 1
	s_add_nc_u64 s[12:13], s[12:13], 4
	s_cmp_eq_u32 s25, s2
	s_clause 0x1
	global_store_b32 v[0:1], v4, off
	global_store_b32 v[2:3], v5, off
	s_cbranch_scc0 .LBB7_3
; %bb.6:                                ;   in Loop: Header=BB7_2 Depth=1
	v_add_nc_u32_e32 v11, s20, v11
	s_add_co_i32 s3, s3, 1
	s_add_co_i32 s22, s22, s2
	s_cmp_eq_u32 s3, s2
	s_add_nc_u64 s[10:11], s[10:11], s[0:1]
	s_cbranch_scc0 .LBB7_2
.LBB7_7:
	s_endpgm
	.section	.rodata,"a",@progbits
	.p2align	6, 0x0
	.amdhsa_kernel _Z23comm_aosoa_naive_directPK15HIP_vector_typeIfLj2EEPS0_S2_i
		.amdhsa_group_segment_fixed_size 0
		.amdhsa_private_segment_fixed_size 0
		.amdhsa_kernarg_size 288
		.amdhsa_user_sgpr_count 2
		.amdhsa_user_sgpr_dispatch_ptr 0
		.amdhsa_user_sgpr_queue_ptr 0
		.amdhsa_user_sgpr_kernarg_segment_ptr 1
		.amdhsa_user_sgpr_dispatch_id 0
		.amdhsa_user_sgpr_kernarg_preload_length 0
		.amdhsa_user_sgpr_kernarg_preload_offset 0
		.amdhsa_user_sgpr_private_segment_size 0
		.amdhsa_wavefront_size32 1
		.amdhsa_uses_dynamic_stack 0
		.amdhsa_enable_private_segment 0
		.amdhsa_system_sgpr_workgroup_id_x 1
		.amdhsa_system_sgpr_workgroup_id_y 0
		.amdhsa_system_sgpr_workgroup_id_z 0
		.amdhsa_system_sgpr_workgroup_info 0
		.amdhsa_system_vgpr_workitem_id 0
		.amdhsa_next_free_vgpr 28
		.amdhsa_next_free_sgpr 36
		.amdhsa_named_barrier_count 0
		.amdhsa_reserve_vcc 0
		.amdhsa_float_round_mode_32 0
		.amdhsa_float_round_mode_16_64 0
		.amdhsa_float_denorm_mode_32 3
		.amdhsa_float_denorm_mode_16_64 3
		.amdhsa_fp16_overflow 0
		.amdhsa_memory_ordered 1
		.amdhsa_forward_progress 1
		.amdhsa_inst_pref_size 6
		.amdhsa_round_robin_scheduling 0
		.amdhsa_exception_fp_ieee_invalid_op 0
		.amdhsa_exception_fp_denorm_src 0
		.amdhsa_exception_fp_ieee_div_zero 0
		.amdhsa_exception_fp_ieee_overflow 0
		.amdhsa_exception_fp_ieee_underflow 0
		.amdhsa_exception_fp_ieee_inexact 0
		.amdhsa_exception_int_div_zero 0
	.end_amdhsa_kernel
	.text
.Lfunc_end7:
	.size	_Z23comm_aosoa_naive_directPK15HIP_vector_typeIfLj2EEPS0_S2_i, .Lfunc_end7-_Z23comm_aosoa_naive_directPK15HIP_vector_typeIfLj2EEPS0_S2_i
                                        ; -- End function
	.set _Z23comm_aosoa_naive_directPK15HIP_vector_typeIfLj2EEPS0_S2_i.num_vgpr, 28
	.set _Z23comm_aosoa_naive_directPK15HIP_vector_typeIfLj2EEPS0_S2_i.num_agpr, 0
	.set _Z23comm_aosoa_naive_directPK15HIP_vector_typeIfLj2EEPS0_S2_i.numbered_sgpr, 36
	.set _Z23comm_aosoa_naive_directPK15HIP_vector_typeIfLj2EEPS0_S2_i.num_named_barrier, 0
	.set _Z23comm_aosoa_naive_directPK15HIP_vector_typeIfLj2EEPS0_S2_i.private_seg_size, 0
	.set _Z23comm_aosoa_naive_directPK15HIP_vector_typeIfLj2EEPS0_S2_i.uses_vcc, 0
	.set _Z23comm_aosoa_naive_directPK15HIP_vector_typeIfLj2EEPS0_S2_i.uses_flat_scratch, 0
	.set _Z23comm_aosoa_naive_directPK15HIP_vector_typeIfLj2EEPS0_S2_i.has_dyn_sized_stack, 0
	.set _Z23comm_aosoa_naive_directPK15HIP_vector_typeIfLj2EEPS0_S2_i.has_recursion, 0
	.set _Z23comm_aosoa_naive_directPK15HIP_vector_typeIfLj2EEPS0_S2_i.has_indirect_call, 0
	.section	.AMDGPU.csdata,"",@progbits
; Kernel info:
; codeLenInByte = 712
; TotalNumSgprs: 36
; NumVgprs: 28
; ScratchSize: 0
; MemoryBound: 0
; FloatMode: 240
; IeeeMode: 1
; LDSByteSize: 0 bytes/workgroup (compile time only)
; SGPRBlocks: 0
; VGPRBlocks: 1
; NumSGPRsForWavesPerEU: 36
; NumVGPRsForWavesPerEU: 28
; NamedBarCnt: 0
; Occupancy: 16
; WaveLimiterHint : 0
; COMPUTE_PGM_RSRC2:SCRATCH_EN: 0
; COMPUTE_PGM_RSRC2:USER_SGPR: 2
; COMPUTE_PGM_RSRC2:TRAP_HANDLER: 0
; COMPUTE_PGM_RSRC2:TGID_X_EN: 1
; COMPUTE_PGM_RSRC2:TGID_Y_EN: 0
; COMPUTE_PGM_RSRC2:TGID_Z_EN: 0
; COMPUTE_PGM_RSRC2:TIDIG_COMP_CNT: 0
	.text
	.protected	_Z33comm_aosoa_naive_constants_directPK15HIP_vector_typeIfLj2EEPS0_S2_ ; -- Begin function _Z33comm_aosoa_naive_constants_directPK15HIP_vector_typeIfLj2EEPS0_S2_
	.globl	_Z33comm_aosoa_naive_constants_directPK15HIP_vector_typeIfLj2EEPS0_S2_
	.p2align	8
	.type	_Z33comm_aosoa_naive_constants_directPK15HIP_vector_typeIfLj2EEPS0_S2_,@function
_Z33comm_aosoa_naive_constants_directPK15HIP_vector_typeIfLj2EEPS0_S2_: ; @_Z33comm_aosoa_naive_constants_directPK15HIP_vector_typeIfLj2EEPS0_S2_
; %bb.0:
	s_load_b32 s2, s[0:1], 0x24
	s_bfe_u32 s3, ttmp6, 0x4000c
	s_and_b32 s4, ttmp6, 15
	s_add_co_i32 s3, s3, 1
	s_getreg_b32 s5, hwreg(HW_REG_IB_STS2, 6, 4)
	s_mul_i32 s3, ttmp9, s3
	s_mov_b64 s[20:21], 0xfffffffffffffe94
	s_add_co_i32 s4, s4, s3
	s_mov_b64 s[22:23], 0xffffffffffffff58
	s_mov_b64 s[24:25], 0xfffffffffffffeb0
	;; [unrolled: 1-line block ×12, first 2 shown]
	s_wait_kmcnt 0x0
	s_and_b32 s2, s2, 0xffff
	s_cmp_eq_u32 s5, 0
	s_mov_b32 s15, 0
	s_cselect_b32 s3, ttmp9, s4
	s_clause 0x1
	s_load_b128 s[4:7], s[0:1], 0x0
	s_load_b64 s[34:35], s[0:1], 0x10
	v_mad_u32 v2, s3, s2, v0
	s_mov_b32 s19, 0
	s_delay_alu instid0(VALU_DEP_1) | instskip(NEXT) | instid1(VALU_DEP_1)
	v_ashrrev_i32_e32 v0, 31, v2
	v_lshrrev_b32_e32 v0, 29, v0
	s_wait_kmcnt 0x0
	s_add_nc_u64 s[50:51], s[34:35], 0x16c
	s_delay_alu instid0(VALU_DEP_1) | instskip(NEXT) | instid1(VALU_DEP_1)
	v_add_nc_u32_e32 v0, v2, v0
	v_dual_ashrrev_i32 v3, 3, v0 :: v_dual_bitop2_b32 v1, -8, v0 bitop3:0x40
	s_delay_alu instid0(VALU_DEP_1) | instskip(NEXT) | instid1(VALU_DEP_2)
	v_mul_lo_u32 v0, 0x310, v3
	v_sub_nc_u32_e32 v1, v2, v1
	v_mad_u32 v2, 0x308, v3, v2
	s_delay_alu instid0(VALU_DEP_1)
	v_dual_mov_b32 v4, v2 :: v_dual_add_nc_u32 v3, 8, v1
.LBB8_1:                                ; =>This Loop Header: Depth=1
                                        ;     Child Loop BB8_2 Depth 2
	s_delay_alu instid0(VALU_DEP_4) | instskip(SKIP_3) | instid1(SALU_CYCLE_1)
	v_mad_u32 v5, 0x70, s19, v0
	s_mul_i32 s14, s19, 7
	s_mov_b32 s33, 0
	s_lshl_b32 s0, s14, 4
	v_add3_u32 v7, s0, 32, v0
	v_add3_u32 v6, s0, 16, v0
	;; [unrolled: 1-line block ×5, first 2 shown]
	v_dual_add_nc_u32 v17, v7, v1 :: v_dual_add_nc_u32 v18, v5, v1
	s_wait_xcnt 0x0
	v_dual_add_nc_u32 v19, v3, v5 :: v_dual_add_nc_u32 v20, v3, v7
	v_dual_add_nc_u32 v15, v6, v1 :: v_dual_add_nc_u32 v16, v3, v6
	;; [unrolled: 1-line block ×3, first 2 shown]
	s_clause 0x7
	global_load_b32 v5, v18, s[4:5] scale_offset
	global_load_b32 v6, v19, s[4:5] scale_offset
	;; [unrolled: 1-line block ×8, first 2 shown]
	s_wait_xcnt 0x5
	v_add3_u32 v15, 0x60, s0, v0
	s_wait_xcnt 0x1
	v_dual_add_nc_u32 v19, v13, v1 :: v_dual_add_nc_u32 v21, v14, v1
	s_wait_xcnt 0x0
	v_dual_add_nc_u32 v20, v3, v13 :: v_dual_add_nc_u32 v22, v3, v14
	v_add_nc_u32_e32 v23, v15, v1
	v_add_nc_u32_e32 v24, v3, v15
	s_clause 0x5
	global_load_b32 v13, v19, s[4:5] scale_offset
	global_load_b32 v14, v20, s[4:5] scale_offset
	global_load_b32 v15, v21, s[4:5] scale_offset
	global_load_b32 v16, v22, s[4:5] scale_offset
	global_load_b32 v17, v23, s[4:5] scale_offset
	global_load_b32 v18, v24, s[4:5] scale_offset
	s_lshl_b64 s[0:1], s[14:15], 2
	s_delay_alu instid0(SALU_CYCLE_1)
	s_add_nc_u64 s[52:53], s[34:35], s[0:1]
	s_clause 0x3
	s_load_b128 s[0:3], s[52:53], 0x0
	s_load_b96 s[12:14], s[52:53], 0x10
	s_load_b128 s[8:11], s[52:53], 0xc4
	s_load_b96 s[16:18], s[52:53], 0xd4
	s_wait_xcnt 0x0
	s_mov_b64 s[52:53], s[50:51]
.LBB8_2:                                ;   Parent Loop BB8_1 Depth=1
                                        ; =>  This Inner Loop Header: Depth=2
	s_wait_xcnt 0x0
	v_dual_add_nc_u32 v19, s33, v4 :: v_dual_add_nc_u32 v20, s33, v2
	s_add_nc_u64 s[54:55], s[52:53], s[20:21]
	s_add_nc_u64 s[56:57], s[52:53], s[22:23]
	s_add_co_i32 s33, s33, 16
	s_delay_alu instid0(VALU_DEP_1)
	v_dual_add_nc_u32 v21, 8, v19 :: v_dual_add_nc_u32 v22, 8, v20
	v_add_nc_u32_e32 v31, 0x158, v20
	v_add_nc_u32_e32 v35, 0x238, v20
	global_load_b32 v23, v20, s[4:5] scale_offset
	s_clause 0x1
	global_load_b32 v24, v21, s[6:7] scale_offset
	global_load_b32 v25, v19, s[6:7] scale_offset
	;; [unrolled: 1-line block ×3, first 2 shown]
	v_add_nc_u32_e32 v26, 0x70, v20
	v_add_nc_u32_e32 v28, 0xe0, v20
	;; [unrolled: 1-line block ×3, first 2 shown]
	s_cmp_lg_u32 s33, 0x70
	s_wait_loadcnt 0x2
	s_wait_kmcnt 0x0
	v_fma_f32 v24, -s0, v23, v24
	v_add_nc_u32_e32 v27, 0x78, v20
	s_wait_loadcnt 0x0
	v_fmac_f32_e32 v25, s0, v22
	s_clause 0x3
	global_load_b32 v26, v26, s[4:5] scale_offset
	global_load_b32 v27, v27, s[4:5] scale_offset
	;; [unrolled: 1-line block ×4, first 2 shown]
	v_add_nc_u32_e32 v30, 0x150, v20
	v_add_nc_u32_e32 v32, 0x1c0, v20
	s_clause 0x1
	global_load_b32 v30, v30, s[4:5] scale_offset
	global_load_b32 v31, v31, s[4:5] scale_offset
	v_add_nc_u32_e32 v33, 0x1c8, v20
	s_clause 0x1
	global_load_b32 v32, v32, s[4:5] scale_offset
	global_load_b32 v33, v33, s[4:5] scale_offset
	;; [unrolled: 4-line block ×3, first 2 shown]
	v_add_nc_u32_e32 v36, 0x2a0, v20
	s_wait_xcnt 0xd
	v_add_nc_u32_e32 v20, 0x2a8, v20
	s_clause 0x1
	global_load_b32 v36, v36, s[4:5] scale_offset
	global_load_b32 v20, v20, s[4:5] scale_offset
	s_clause 0x1
	s_load_b32 s58, s[54:55], 0x0
	s_load_b32 s59, s[56:57], 0x0
	s_wait_xcnt 0x0
	s_add_nc_u64 s[54:55], s[52:53], s[24:25]
	s_add_nc_u64 s[56:57], s[52:53], s[26:27]
	s_clause 0x1
	s_load_b32 s60, s[54:55], 0x0
	s_load_b32 s61, s[56:57], 0x0
	s_wait_xcnt 0x0
	s_add_nc_u64 s[54:55], s[52:53], s[28:29]
	s_add_nc_u64 s[56:57], s[52:53], s[30:31]
	s_wait_kmcnt 0x0
	v_fma_f32 v25, -v5, s59, v25
	s_delay_alu instid0(VALU_DEP_1) | instskip(NEXT) | instid1(VALU_DEP_1)
	v_fmac_f32_e32 v25, s8, v23
	v_dual_fma_f32 v23, -s58, v6, v25 :: v_dual_fmac_f32 v24, s58, v5
	s_delay_alu instid0(VALU_DEP_1) | instskip(NEXT) | instid1(VALU_DEP_1)
	v_fmac_f32_e32 v24, s8, v22
	v_fma_f32 v22, -v6, s59, v24
	s_clause 0x1
	s_load_b32 s58, s[54:55], 0x0
	s_load_b32 s59, s[56:57], 0x0
	s_wait_xcnt 0x0
	s_add_nc_u64 s[54:55], s[52:53], s[36:37]
	s_add_nc_u64 s[56:57], s[52:53], s[38:39]
	s_wait_loadcnt 0xa
	v_fmac_f32_e32 v23, s1, v27
	s_delay_alu instid0(VALU_DEP_1) | instskip(NEXT) | instid1(VALU_DEP_1)
	v_fma_f32 v23, -v7, s61, v23
	v_dual_fmac_f32 v23, s9, v26 :: v_dual_fma_f32 v22, -s1, v26, v22
	s_delay_alu instid0(VALU_DEP_1) | instskip(SKIP_1) | instid1(VALU_DEP_1)
	v_dual_fma_f32 v23, -s60, v8, v23 :: v_dual_fmac_f32 v22, s60, v7
	s_wait_loadcnt 0x8
	v_dual_fmac_f32 v23, s2, v29 :: v_dual_fmac_f32 v22, s9, v27
	s_wait_kmcnt 0x0
	s_delay_alu instid0(VALU_DEP_1) | instskip(NEXT) | instid1(VALU_DEP_2)
	v_fma_f32 v23, -v9, s59, v23
	v_fma_f32 v22, -v8, s61, v22
	s_clause 0x1
	s_load_b32 s60, s[54:55], 0x0
	s_load_b32 s61, s[56:57], 0x0
	s_wait_xcnt 0x0
	s_add_nc_u64 s[54:55], s[52:53], s[40:41]
	s_add_nc_u64 s[56:57], s[52:53], s[42:43]
	v_dual_fmac_f32 v23, s10, v28 :: v_dual_fma_f32 v22, -s2, v28, v22
	s_delay_alu instid0(VALU_DEP_1) | instskip(SKIP_1) | instid1(VALU_DEP_1)
	v_dual_fma_f32 v23, -s58, v10, v23 :: v_dual_fmac_f32 v22, s58, v9
	s_wait_loadcnt 0x6
	v_dual_fmac_f32 v23, s3, v31 :: v_dual_fmac_f32 v22, s10, v29
	s_delay_alu instid0(VALU_DEP_1)
	v_fma_f32 v22, -v10, s59, v22
	s_clause 0x1
	s_load_b32 s58, s[54:55], 0x0
	s_load_b32 s59, s[56:57], 0x0
	s_wait_xcnt 0x0
	s_add_nc_u64 s[54:55], s[52:53], s[44:45]
	s_wait_kmcnt 0x0
	v_fma_f32 v23, -v11, s61, v23
	s_add_nc_u64 s[56:57], s[52:53], s[46:47]
	s_delay_alu instid0(VALU_DEP_1) | instskip(NEXT) | instid1(VALU_DEP_1)
	v_dual_fmac_f32 v23, s11, v30 :: v_dual_fma_f32 v22, -s3, v30, v22
	v_dual_fma_f32 v23, -s60, v12, v23 :: v_dual_fmac_f32 v22, s60, v11
	s_clause 0x1
	s_load_b32 s60, s[54:55], 0x0
	s_nop 0
	s_load_b32 s56, s[56:57], 0x0
	s_wait_xcnt 0x0
	s_add_nc_u64 s[54:55], s[52:53], s[48:49]
	s_clause 0x1
	s_load_b32 s57, s[52:53], 0x0
	s_nop 0
	s_load_b32 s54, s[54:55], 0x0
	s_wait_loadcnt 0x4
	v_fmac_f32_e32 v23, s12, v33
	s_wait_xcnt 0x0
	s_add_nc_u64 s[52:53], s[52:53], 4
	s_delay_alu instid0(VALU_DEP_1) | instskip(NEXT) | instid1(VALU_DEP_1)
	v_fma_f32 v23, -v13, s59, v23
	v_dual_fmac_f32 v22, s11, v31 :: v_dual_fmac_f32 v23, s16, v32
	s_delay_alu instid0(VALU_DEP_1) | instskip(NEXT) | instid1(VALU_DEP_1)
	v_fma_f32 v22, -v12, s61, v22
	v_dual_fma_f32 v23, -s58, v14, v23 :: v_dual_fma_f32 v22, -s12, v32, v22
	s_wait_loadcnt 0x2
	s_delay_alu instid0(VALU_DEP_1) | instskip(SKIP_1) | instid1(VALU_DEP_1)
	v_dual_fmac_f32 v23, s13, v35 :: v_dual_fmac_f32 v22, s58, v13
	s_wait_kmcnt 0x0
	v_fma_f32 v23, -v15, s56, v23
	s_delay_alu instid0(VALU_DEP_1) | instskip(NEXT) | instid1(VALU_DEP_1)
	v_dual_fmac_f32 v22, s16, v33 :: v_dual_fmac_f32 v23, s17, v34
	v_fma_f32 v22, -v14, s59, v22
	s_delay_alu instid0(VALU_DEP_1) | instskip(SKIP_1) | instid1(VALU_DEP_1)
	v_dual_fma_f32 v23, -s60, v16, v23 :: v_dual_fma_f32 v22, -s13, v34, v22
	s_wait_loadcnt 0x0
	v_dual_fmac_f32 v23, s14, v20 :: v_dual_fmac_f32 v22, s60, v15
	s_delay_alu instid0(VALU_DEP_1) | instskip(NEXT) | instid1(VALU_DEP_1)
	v_fma_f32 v23, -v17, s57, v23
	v_dual_fmac_f32 v22, s17, v35 :: v_dual_fmac_f32 v23, s18, v36
	s_delay_alu instid0(VALU_DEP_1) | instskip(NEXT) | instid1(VALU_DEP_1)
	v_fma_f32 v22, -v16, s56, v22
	v_fma_f32 v22, -s14, v36, v22
	s_delay_alu instid0(VALU_DEP_1) | instskip(NEXT) | instid1(VALU_DEP_1)
	v_fmac_f32_e32 v22, s54, v17
	v_fmac_f32_e32 v22, s18, v20
	s_delay_alu instid0(VALU_DEP_1)
	v_fma_f32 v20, -v18, s57, v22
	v_fma_f32 v22, -s54, v18, v23
	s_clause 0x1
	global_store_b32 v21, v20, s[6:7] scale_offset
	global_store_b32 v19, v22, s[6:7] scale_offset
	s_cbranch_scc1 .LBB8_2
; %bb.3:                                ;   in Loop: Header=BB8_1 Depth=1
	v_add_nc_u32_e32 v4, 0x70, v4
	s_add_co_i32 s19, s19, 1
	s_delay_alu instid0(SALU_CYCLE_1)
	s_cmp_eq_u32 s19, 7
	s_cbranch_scc0 .LBB8_1
; %bb.4:
	s_endpgm
	.section	.rodata,"a",@progbits
	.p2align	6, 0x0
	.amdhsa_kernel _Z33comm_aosoa_naive_constants_directPK15HIP_vector_typeIfLj2EEPS0_S2_
		.amdhsa_group_segment_fixed_size 0
		.amdhsa_private_segment_fixed_size 0
		.amdhsa_kernarg_size 280
		.amdhsa_user_sgpr_count 2
		.amdhsa_user_sgpr_dispatch_ptr 0
		.amdhsa_user_sgpr_queue_ptr 0
		.amdhsa_user_sgpr_kernarg_segment_ptr 1
		.amdhsa_user_sgpr_dispatch_id 0
		.amdhsa_user_sgpr_kernarg_preload_length 0
		.amdhsa_user_sgpr_kernarg_preload_offset 0
		.amdhsa_user_sgpr_private_segment_size 0
		.amdhsa_wavefront_size32 1
		.amdhsa_uses_dynamic_stack 0
		.amdhsa_enable_private_segment 0
		.amdhsa_system_sgpr_workgroup_id_x 1
		.amdhsa_system_sgpr_workgroup_id_y 0
		.amdhsa_system_sgpr_workgroup_id_z 0
		.amdhsa_system_sgpr_workgroup_info 0
		.amdhsa_system_vgpr_workitem_id 0
		.amdhsa_next_free_vgpr 37
		.amdhsa_next_free_sgpr 62
		.amdhsa_named_barrier_count 0
		.amdhsa_reserve_vcc 0
		.amdhsa_float_round_mode_32 0
		.amdhsa_float_round_mode_16_64 0
		.amdhsa_float_denorm_mode_32 3
		.amdhsa_float_denorm_mode_16_64 3
		.amdhsa_fp16_overflow 0
		.amdhsa_memory_ordered 1
		.amdhsa_forward_progress 1
		.amdhsa_inst_pref_size 15
		.amdhsa_round_robin_scheduling 0
		.amdhsa_exception_fp_ieee_invalid_op 0
		.amdhsa_exception_fp_denorm_src 0
		.amdhsa_exception_fp_ieee_div_zero 0
		.amdhsa_exception_fp_ieee_overflow 0
		.amdhsa_exception_fp_ieee_underflow 0
		.amdhsa_exception_fp_ieee_inexact 0
		.amdhsa_exception_int_div_zero 0
	.end_amdhsa_kernel
	.text
.Lfunc_end8:
	.size	_Z33comm_aosoa_naive_constants_directPK15HIP_vector_typeIfLj2EEPS0_S2_, .Lfunc_end8-_Z33comm_aosoa_naive_constants_directPK15HIP_vector_typeIfLj2EEPS0_S2_
                                        ; -- End function
	.set _Z33comm_aosoa_naive_constants_directPK15HIP_vector_typeIfLj2EEPS0_S2_.num_vgpr, 37
	.set _Z33comm_aosoa_naive_constants_directPK15HIP_vector_typeIfLj2EEPS0_S2_.num_agpr, 0
	.set _Z33comm_aosoa_naive_constants_directPK15HIP_vector_typeIfLj2EEPS0_S2_.numbered_sgpr, 62
	.set _Z33comm_aosoa_naive_constants_directPK15HIP_vector_typeIfLj2EEPS0_S2_.num_named_barrier, 0
	.set _Z33comm_aosoa_naive_constants_directPK15HIP_vector_typeIfLj2EEPS0_S2_.private_seg_size, 0
	.set _Z33comm_aosoa_naive_constants_directPK15HIP_vector_typeIfLj2EEPS0_S2_.uses_vcc, 0
	.set _Z33comm_aosoa_naive_constants_directPK15HIP_vector_typeIfLj2EEPS0_S2_.uses_flat_scratch, 0
	.set _Z33comm_aosoa_naive_constants_directPK15HIP_vector_typeIfLj2EEPS0_S2_.has_dyn_sized_stack, 0
	.set _Z33comm_aosoa_naive_constants_directPK15HIP_vector_typeIfLj2EEPS0_S2_.has_recursion, 0
	.set _Z33comm_aosoa_naive_constants_directPK15HIP_vector_typeIfLj2EEPS0_S2_.has_indirect_call, 0
	.section	.AMDGPU.csdata,"",@progbits
; Kernel info:
; codeLenInByte = 1796
; TotalNumSgprs: 62
; NumVgprs: 37
; ScratchSize: 0
; MemoryBound: 0
; FloatMode: 240
; IeeeMode: 1
; LDSByteSize: 0 bytes/workgroup (compile time only)
; SGPRBlocks: 0
; VGPRBlocks: 2
; NumSGPRsForWavesPerEU: 62
; NumVGPRsForWavesPerEU: 37
; NamedBarCnt: 0
; Occupancy: 16
; WaveLimiterHint : 0
; COMPUTE_PGM_RSRC2:SCRATCH_EN: 0
; COMPUTE_PGM_RSRC2:USER_SGPR: 2
; COMPUTE_PGM_RSRC2:TRAP_HANDLER: 0
; COMPUTE_PGM_RSRC2:TGID_X_EN: 1
; COMPUTE_PGM_RSRC2:TGID_Y_EN: 0
; COMPUTE_PGM_RSRC2:TGID_Z_EN: 0
; COMPUTE_PGM_RSRC2:TIDIG_COMP_CNT: 0
	.text
	.protected	_Z38comm_aosoa_naive_constants_direct_permPK15HIP_vector_typeIfLj2EEPS0_S2_ ; -- Begin function _Z38comm_aosoa_naive_constants_direct_permPK15HIP_vector_typeIfLj2EEPS0_S2_
	.globl	_Z38comm_aosoa_naive_constants_direct_permPK15HIP_vector_typeIfLj2EEPS0_S2_
	.p2align	8
	.type	_Z38comm_aosoa_naive_constants_direct_permPK15HIP_vector_typeIfLj2EEPS0_S2_,@function
_Z38comm_aosoa_naive_constants_direct_permPK15HIP_vector_typeIfLj2EEPS0_S2_: ; @_Z38comm_aosoa_naive_constants_direct_permPK15HIP_vector_typeIfLj2EEPS0_S2_
; %bb.0:
	s_load_b32 s2, s[0:1], 0x24
	s_bfe_u32 s3, ttmp6, 0x4000c
	s_and_b32 s4, ttmp6, 15
	s_add_co_i32 s3, s3, 1
	s_getreg_b32 s5, hwreg(HW_REG_IB_STS2, 6, 4)
	s_mul_i32 s3, ttmp9, s3
	s_mov_b64 s[22:23], 0xc4
	s_add_co_i32 s4, s4, s3
	s_mov_b64 s[24:25], 0xffffffffffffff3c
	s_mov_b32 s15, 0
	s_wait_kmcnt 0x0
	s_and_b32 s2, s2, 0xffff
	s_cmp_eq_u32 s5, 0
	s_cselect_b32 s3, ttmp9, s4
	s_clause 0x1
	s_load_b128 s[4:7], s[0:1], 0x0
	s_load_b64 s[20:21], s[0:1], 0x10
	v_mad_u32 v28, s3, s2, v0
	s_delay_alu instid0(VALU_DEP_1) | instskip(NEXT) | instid1(VALU_DEP_1)
	v_dual_mov_b32 v33, v28 :: v_dual_ashrrev_i32 v0, 31, v28
	v_lshrrev_b32_e32 v0, 29, v0
	s_delay_alu instid0(VALU_DEP_1) | instskip(NEXT) | instid1(VALU_DEP_1)
	v_add_nc_u32_e32 v0, v28, v0
	v_dual_ashrrev_i32 v1, 3, v0 :: v_dual_bitop2_b32 v0, -8, v0 bitop3:0x40
	s_delay_alu instid0(VALU_DEP_1) | instskip(SKIP_1) | instid1(VALU_DEP_3)
	v_mul_lo_u32 v29, 0x310, v1
	v_mul_lo_u32 v31, 0x308, v1
	v_sub_nc_u32_e32 v30, v28, v0
	s_delay_alu instid0(VALU_DEP_1)
	v_add_nc_u32_e32 v32, 8, v30
.LBB9_1:                                ; =>This Loop Header: Depth=1
                                        ;     Child Loop BB9_2 Depth 2
	s_delay_alu instid0(VALU_DEP_4) | instskip(SKIP_3) | instid1(VALU_DEP_2)
	v_mad_u32 v18, 0x70, s15, v29
	s_mov_b64 s[26:27], 0
	s_mov_b64 s[28:29], s[22:23]
	v_dual_mov_b32 v34, v33 :: v_dual_mov_b32 v35, v28
	v_dual_add_nc_u32 v0, v32, v18 :: v_dual_add_nc_u32 v5, 16, v18
	v_add_nc_u32_e32 v2, v18, v30
	v_dual_add_nc_u32 v7, 32, v18 :: v_dual_add_nc_u32 v9, 48, v18
	s_delay_alu instid0(VALU_DEP_3)
	v_dual_add_nc_u32 v19, 64, v18 :: v_dual_add_nc_u32 v4, v32, v5
	v_add_nc_u32_e32 v21, 0x50, v18
	v_add_nc_u32_e32 v23, 0x60, v18
	v_dual_ashrrev_i32 v1, 31, v0 :: v_dual_ashrrev_i32 v3, 31, v2
	v_dual_add_nc_u32 v8, v32, v7 :: v_dual_add_nc_u32 v6, v5, v30
	v_dual_add_nc_u32 v10, v7, v30 :: v_dual_add_nc_u32 v12, v32, v9
	;; [unrolled: 1-line block ×3, first 2 shown]
	v_dual_ashrrev_i32 v5, 31, v4 :: v_dual_add_nc_u32 v18, v19, v30
	v_dual_add_nc_u32 v20, v32, v21 :: v_dual_add_nc_u32 v22, v21, v30
	s_wait_xcnt 0x0
	v_dual_add_nc_u32 v24, v32, v23 :: v_dual_add_nc_u32 v26, v23, v30
	v_dual_ashrrev_i32 v7, 31, v6 :: v_dual_ashrrev_i32 v9, 31, v8
	v_dual_ashrrev_i32 v11, 31, v10 :: v_dual_ashrrev_i32 v13, 31, v12
	;; [unrolled: 1-line block ×3, first 2 shown]
	s_delay_alu instid0(VALU_DEP_4)
	v_dual_ashrrev_i32 v19, 31, v18 :: v_dual_ashrrev_i32 v25, 31, v24
	v_dual_ashrrev_i32 v21, 31, v20 :: v_dual_ashrrev_i32 v23, 31, v22
	v_ashrrev_i32_e32 v27, 31, v26
	s_wait_kmcnt 0x0
	v_lshl_add_u64 v[0:1], v[0:1], 2, s[6:7]
	v_lshl_add_u64 v[2:3], v[2:3], 2, s[6:7]
	;; [unrolled: 1-line block ×14, first 2 shown]
.LBB9_2:                                ;   Parent Loop BB9_1 Depth=1
                                        ; =>  This Inner Loop Header: Depth=2
	s_wait_xcnt 0x0
	v_dual_add_nc_u32 v36, v31, v35 :: v_dual_add_nc_u32 v37, v31, v34
	s_clause 0x1
	global_load_b32 v38, v[0:1], off
	global_load_b32 v39, v[2:3], off
	s_add_nc_u64 s[34:35], s[20:21], s[28:29]
	s_add_nc_u64 s[36:37], s[20:21], s[26:27]
	v_dual_add_nc_u32 v40, 8, v36 :: v_dual_add_nc_u32 v41, 8, v37
	s_add_nc_u64 s[38:39], s[34:35], s[24:25]
	s_clause 0x3
	global_load_b32 v42, v37, s[4:5] scale_offset
	global_load_b32 v43, v36, s[4:5] scale_offset
	;; [unrolled: 1-line block ×4, first 2 shown]
	s_clause 0x5
	s_load_b128 s[0:3], s[36:37], 0x0
	s_load_b96 s[12:14], s[36:37], 0x10
	s_load_b96 s[16:18], s[36:37], 0xd4
	s_load_b128 s[8:11], s[36:37], 0xc4
	s_load_b32 s30, s[38:39], 0x0
	s_load_b32 s19, s[34:35], 0x0
	v_dual_add_nc_u32 v37, 16, v36 :: v_dual_add_nc_u32 v40, 24, v36
	v_dual_add_nc_u32 v41, 32, v36 :: v_dual_add_nc_u32 v46, 40, v36
	;; [unrolled: 1-line block ×3, first 2 shown]
	v_add_nc_u32_e32 v49, 64, v36
	s_clause 0x6
	global_load_b32 v50, v37, s[4:5] scale_offset
	global_load_b32 v51, v40, s[4:5] scale_offset
	;; [unrolled: 1-line block ×7, first 2 shown]
	v_add_nc_u32_e32 v34, 16, v34
	s_add_nc_u64 s[26:27], s[26:27], 28
	s_add_nc_u64 s[28:29], s[28:29], 4
	s_cmp_eq_u32 s26, 0xc4
	s_wait_xcnt 0x5
	v_add_nc_u32_e32 v40, 0x50, v36
	v_add_nc_u32_e32 v35, 0x70, v35
	s_wait_loadcnt 0x8
	s_wait_kmcnt 0x0
	v_dual_fma_f32 v37, -s30, v43, v38 :: v_dual_fmac_f32 v39, s30, v44
	s_delay_alu instid0(VALU_DEP_1) | instskip(NEXT) | instid1(VALU_DEP_2)
	v_fmac_f32_e32 v37, s0, v42
	v_fma_f32 v38, -v42, s8, v39
	v_add_nc_u32_e32 v39, 0x48, v36
	s_delay_alu instid0(VALU_DEP_2) | instskip(SKIP_2) | instid1(VALU_DEP_2)
	v_dual_fmac_f32 v37, s19, v44 :: v_dual_fmac_f32 v38, s19, v43
	v_add_nc_u32_e32 v43, 0x60, v36
	s_wait_loadcnt 0x7
	v_fma_f32 v37, -v45, s8, v37
	s_delay_alu instid0(VALU_DEP_3)
	v_fma_f32 v38, -v45, s0, v38
	s_clause 0x3
	global_store_b32 v[0:1], v37, off
	global_store_b32 v[2:3], v38, off
	global_load_b32 v37, v[4:5], off
	global_load_b32 v38, v[6:7], off
	s_wait_loadcnt 0x0
	v_dual_fma_f32 v37, -s30, v50, v37 :: v_dual_fmac_f32 v38, s30, v51
	s_delay_alu instid0(VALU_DEP_1) | instskip(NEXT) | instid1(VALU_DEP_2)
	v_fmac_f32_e32 v37, s1, v42
	v_fma_f32 v38, -v42, s9, v38
	s_delay_alu instid0(VALU_DEP_1) | instskip(NEXT) | instid1(VALU_DEP_1)
	v_dual_fmac_f32 v37, s19, v51 :: v_dual_fmac_f32 v38, s19, v50
	v_fma_f32 v37, -v45, s9, v37
	s_delay_alu instid0(VALU_DEP_2)
	v_fma_f32 v38, -v45, s1, v38
	s_clause 0x3
	global_store_b32 v[4:5], v37, off
	global_store_b32 v[6:7], v38, off
	global_load_b32 v37, v[8:9], off
	global_load_b32 v38, v[10:11], off
	s_wait_loadcnt 0x0
	v_fmac_f32_e32 v38, s30, v53
	s_delay_alu instid0(VALU_DEP_1) | instskip(NEXT) | instid1(VALU_DEP_1)
	v_fma_f32 v38, -v42, s10, v38
	v_dual_fma_f32 v37, -s30, v52, v37 :: v_dual_fmac_f32 v38, s19, v52
	s_delay_alu instid0(VALU_DEP_1) | instskip(NEXT) | instid1(VALU_DEP_2)
	v_fmac_f32_e32 v37, s2, v42
	v_fma_f32 v38, -v45, s2, v38
	s_delay_alu instid0(VALU_DEP_2) | instskip(NEXT) | instid1(VALU_DEP_1)
	v_fmac_f32_e32 v37, s19, v53
	v_fma_f32 v37, -v45, s10, v37
	s_clause 0x3
	global_store_b32 v[8:9], v37, off
	global_store_b32 v[10:11], v38, off
	global_load_b32 v37, v[12:13], off
	global_load_b32 v38, v[14:15], off
	global_load_b32 v39, v39, s[4:5] scale_offset
	v_add_nc_u32_e32 v41, 0x58, v36
	v_add_nc_u32_e32 v36, 0x68, v36
	s_wait_loadcnt 0x1
	v_dual_fma_f32 v37, -s30, v54, v37 :: v_dual_fmac_f32 v38, s30, v55
	s_delay_alu instid0(VALU_DEP_1) | instskip(NEXT) | instid1(VALU_DEP_2)
	v_fmac_f32_e32 v37, s3, v42
	v_fma_f32 v38, -v42, s11, v38
	s_delay_alu instid0(VALU_DEP_1) | instskip(NEXT) | instid1(VALU_DEP_1)
	v_dual_fmac_f32 v37, s19, v55 :: v_dual_fmac_f32 v38, s19, v54
	v_fma_f32 v37, -v45, s11, v37
	s_delay_alu instid0(VALU_DEP_2)
	v_fma_f32 v38, -v45, s3, v38
	s_clause 0x3
	global_store_b32 v[12:13], v37, off
	global_store_b32 v[14:15], v38, off
	global_load_b32 v37, v[16:17], off
	global_load_b32 v38, v[18:19], off
	s_clause 0x3
	global_load_b32 v44, v40, s[4:5] scale_offset
	global_load_b32 v46, v41, s[4:5] scale_offset
	;; [unrolled: 1-line block ×4, first 2 shown]
	s_wait_loadcnt 0x4
	s_wait_xcnt 0x0
	v_dual_fma_f32 v36, -s30, v56, v37 :: v_dual_fmac_f32 v38, s30, v39
	s_delay_alu instid0(VALU_DEP_1) | instskip(NEXT) | instid1(VALU_DEP_1)
	v_fma_f32 v37, -v42, s16, v38
	v_dual_fmac_f32 v37, s19, v56 :: v_dual_fmac_f32 v36, s12, v42
	s_delay_alu instid0(VALU_DEP_1) | instskip(NEXT) | instid1(VALU_DEP_2)
	v_fma_f32 v37, -v45, s12, v37
	v_fmac_f32_e32 v36, s19, v39
	s_delay_alu instid0(VALU_DEP_1)
	v_fma_f32 v36, -v45, s16, v36
	s_clause 0x3
	global_store_b32 v[16:17], v36, off
	global_store_b32 v[18:19], v37, off
	global_load_b32 v36, v[20:21], off
	global_load_b32 v37, v[22:23], off
	s_wait_loadcnt 0x0
	v_dual_fma_f32 v36, -s30, v44, v36 :: v_dual_fmac_f32 v37, s30, v46
	s_delay_alu instid0(VALU_DEP_1) | instskip(NEXT) | instid1(VALU_DEP_2)
	v_fmac_f32_e32 v36, s13, v42
	v_fma_f32 v37, -v42, s17, v37
	s_delay_alu instid0(VALU_DEP_1) | instskip(NEXT) | instid1(VALU_DEP_1)
	v_dual_fmac_f32 v36, s19, v46 :: v_dual_fmac_f32 v37, s19, v44
	v_fma_f32 v36, -v45, s17, v36
	s_delay_alu instid0(VALU_DEP_2)
	v_fma_f32 v37, -v45, s13, v37
	s_clause 0x3
	global_store_b32 v[20:21], v36, off
	global_store_b32 v[22:23], v37, off
	global_load_b32 v36, v[24:25], off
	global_load_b32 v37, v[26:27], off
	s_wait_loadcnt 0x0
	v_dual_fma_f32 v36, -s30, v47, v36 :: v_dual_fmac_f32 v37, s30, v48
	s_delay_alu instid0(VALU_DEP_1) | instskip(NEXT) | instid1(VALU_DEP_1)
	v_fma_f32 v37, -v42, s18, v37
	v_dual_fmac_f32 v36, s14, v42 :: v_dual_fmac_f32 v37, s19, v47
	s_delay_alu instid0(VALU_DEP_1) | instskip(NEXT) | instid1(VALU_DEP_2)
	v_fmac_f32_e32 v36, s19, v48
	v_fma_f32 v37, -v45, s14, v37
	s_delay_alu instid0(VALU_DEP_2)
	v_fma_f32 v36, -v45, s18, v36
	s_clause 0x1
	global_store_b32 v[24:25], v36, off
	global_store_b32 v[26:27], v37, off
	s_cbranch_scc0 .LBB9_2
; %bb.3:                                ;   in Loop: Header=BB9_1 Depth=1
	v_add_nc_u32_e32 v33, 0x70, v33
	s_add_co_i32 s15, s15, 1
	s_add_nc_u64 s[22:23], s[22:23], 28
	s_cmp_eq_u32 s15, 7
	s_cbranch_scc0 .LBB9_1
; %bb.4:
	s_endpgm
	.section	.rodata,"a",@progbits
	.p2align	6, 0x0
	.amdhsa_kernel _Z38comm_aosoa_naive_constants_direct_permPK15HIP_vector_typeIfLj2EEPS0_S2_
		.amdhsa_group_segment_fixed_size 0
		.amdhsa_private_segment_fixed_size 0
		.amdhsa_kernarg_size 280
		.amdhsa_user_sgpr_count 2
		.amdhsa_user_sgpr_dispatch_ptr 0
		.amdhsa_user_sgpr_queue_ptr 0
		.amdhsa_user_sgpr_kernarg_segment_ptr 1
		.amdhsa_user_sgpr_dispatch_id 0
		.amdhsa_user_sgpr_kernarg_preload_length 0
		.amdhsa_user_sgpr_kernarg_preload_offset 0
		.amdhsa_user_sgpr_private_segment_size 0
		.amdhsa_wavefront_size32 1
		.amdhsa_uses_dynamic_stack 0
		.amdhsa_enable_private_segment 0
		.amdhsa_system_sgpr_workgroup_id_x 1
		.amdhsa_system_sgpr_workgroup_id_y 0
		.amdhsa_system_sgpr_workgroup_id_z 0
		.amdhsa_system_sgpr_workgroup_info 0
		.amdhsa_system_vgpr_workitem_id 0
		.amdhsa_next_free_vgpr 57
		.amdhsa_next_free_sgpr 40
		.amdhsa_named_barrier_count 0
		.amdhsa_reserve_vcc 0
		.amdhsa_float_round_mode_32 0
		.amdhsa_float_round_mode_16_64 0
		.amdhsa_float_denorm_mode_32 3
		.amdhsa_float_denorm_mode_16_64 3
		.amdhsa_fp16_overflow 0
		.amdhsa_memory_ordered 1
		.amdhsa_forward_progress 1
		.amdhsa_inst_pref_size 15
		.amdhsa_round_robin_scheduling 0
		.amdhsa_exception_fp_ieee_invalid_op 0
		.amdhsa_exception_fp_denorm_src 0
		.amdhsa_exception_fp_ieee_div_zero 0
		.amdhsa_exception_fp_ieee_overflow 0
		.amdhsa_exception_fp_ieee_underflow 0
		.amdhsa_exception_fp_ieee_inexact 0
		.amdhsa_exception_int_div_zero 0
	.end_amdhsa_kernel
	.text
.Lfunc_end9:
	.size	_Z38comm_aosoa_naive_constants_direct_permPK15HIP_vector_typeIfLj2EEPS0_S2_, .Lfunc_end9-_Z38comm_aosoa_naive_constants_direct_permPK15HIP_vector_typeIfLj2EEPS0_S2_
                                        ; -- End function
	.set _Z38comm_aosoa_naive_constants_direct_permPK15HIP_vector_typeIfLj2EEPS0_S2_.num_vgpr, 57
	.set _Z38comm_aosoa_naive_constants_direct_permPK15HIP_vector_typeIfLj2EEPS0_S2_.num_agpr, 0
	.set _Z38comm_aosoa_naive_constants_direct_permPK15HIP_vector_typeIfLj2EEPS0_S2_.numbered_sgpr, 40
	.set _Z38comm_aosoa_naive_constants_direct_permPK15HIP_vector_typeIfLj2EEPS0_S2_.num_named_barrier, 0
	.set _Z38comm_aosoa_naive_constants_direct_permPK15HIP_vector_typeIfLj2EEPS0_S2_.private_seg_size, 0
	.set _Z38comm_aosoa_naive_constants_direct_permPK15HIP_vector_typeIfLj2EEPS0_S2_.uses_vcc, 0
	.set _Z38comm_aosoa_naive_constants_direct_permPK15HIP_vector_typeIfLj2EEPS0_S2_.uses_flat_scratch, 0
	.set _Z38comm_aosoa_naive_constants_direct_permPK15HIP_vector_typeIfLj2EEPS0_S2_.has_dyn_sized_stack, 0
	.set _Z38comm_aosoa_naive_constants_direct_permPK15HIP_vector_typeIfLj2EEPS0_S2_.has_recursion, 0
	.set _Z38comm_aosoa_naive_constants_direct_permPK15HIP_vector_typeIfLj2EEPS0_S2_.has_indirect_call, 0
	.section	.AMDGPU.csdata,"",@progbits
; Kernel info:
; codeLenInByte = 1812
; TotalNumSgprs: 40
; NumVgprs: 57
; ScratchSize: 0
; MemoryBound: 0
; FloatMode: 240
; IeeeMode: 1
; LDSByteSize: 0 bytes/workgroup (compile time only)
; SGPRBlocks: 0
; VGPRBlocks: 3
; NumSGPRsForWavesPerEU: 40
; NumVGPRsForWavesPerEU: 57
; NamedBarCnt: 0
; Occupancy: 16
; WaveLimiterHint : 1
; COMPUTE_PGM_RSRC2:SCRATCH_EN: 0
; COMPUTE_PGM_RSRC2:USER_SGPR: 2
; COMPUTE_PGM_RSRC2:TRAP_HANDLER: 0
; COMPUTE_PGM_RSRC2:TGID_X_EN: 1
; COMPUTE_PGM_RSRC2:TGID_Y_EN: 0
; COMPUTE_PGM_RSRC2:TGID_Z_EN: 0
; COMPUTE_PGM_RSRC2:TIDIG_COMP_CNT: 0
	.text
	.protected	_Z10comm_aosoaPK15HIP_vector_typeIfLj2EEPS0_S2_i ; -- Begin function _Z10comm_aosoaPK15HIP_vector_typeIfLj2EEPS0_S2_i
	.globl	_Z10comm_aosoaPK15HIP_vector_typeIfLj2EEPS0_S2_i
	.p2align	8
	.type	_Z10comm_aosoaPK15HIP_vector_typeIfLj2EEPS0_S2_i,@function
_Z10comm_aosoaPK15HIP_vector_typeIfLj2EEPS0_S2_i: ; @_Z10comm_aosoaPK15HIP_vector_typeIfLj2EEPS0_S2_i
; %bb.0:
	s_load_b32 s4, s[0:1], 0x18
	s_wait_kmcnt 0x0
	s_cmp_lt_i32 s4, 1
	s_cbranch_scc1 .LBB10_7
; %bb.1:
	s_bfe_u32 s2, ttmp6, 0x40010
	s_bfe_u32 s3, ttmp6, 0x40004
	s_add_co_i32 s2, s2, 1
	s_load_b64 s[6:7], s[0:1], 0x10
	s_mul_i32 s2, ttmp7, s2
	s_lshl_b32 s20, s4, 4
	s_add_co_i32 s5, s3, s2
	s_getreg_b32 s2, hwreg(HW_REG_IB_STS2, 6, 4)
	v_bfe_u32 v1, v0, 10, 10
	s_cmp_eq_u32 s2, 0
	s_wait_xcnt 0x0
	s_load_b128 s[0:3], s[0:1], 0x0
	s_cselect_b32 s5, ttmp7, s5
	v_and_b32_e32 v3, 0x3ff, v0
	v_lshl_add_u32 v1, s5, 6, v1
	s_mul_i32 s5, s20, s4
	s_mul_i32 s21, s4, s4
	s_delay_alu instid0(VALU_DEP_2) | instskip(NEXT) | instid1(VALU_DEP_2)
	v_dual_mov_b32 v5, v3 :: v_dual_add_nc_u32 v4, 8, v3
	v_mul_lo_u32 v2, v1, s5
	s_mov_b32 s5, 0
	s_mov_b32 s22, s21
	s_lshl_b64 s[8:9], s[4:5], 2
	s_wait_kmcnt 0x0
	s_mov_b64 s[10:11], s[6:7]
.LBB10_2:                               ; =>This Loop Header: Depth=1
                                        ;     Child Loop BB10_3 Depth 2
                                        ;       Child Loop BB10_4 Depth 3
	v_mov_b32_e32 v6, v3
	s_mul_i32 s23, s5, s4
	s_mov_b64 s[12:13], s[6:7]
	s_mov_b32 s24, s21
	s_mov_b32 s25, 0
.LBB10_3:                               ;   Parent Loop BB10_2 Depth=1
                                        ; =>  This Loop Header: Depth=2
                                        ;       Child Loop BB10_4 Depth 3
	s_wait_xcnt 0x0
	v_dual_mov_b32 v0, 0 :: v_dual_mov_b32 v7, v5
	v_mov_b32_e32 v8, v6
	s_mov_b32 s26, 0
	s_mov_b64 s[14:15], s[10:11]
	s_delay_alu instid0(VALU_DEP_2)
	v_mov_b32_e32 v1, v0
	s_mov_b64 s[16:17], s[12:13]
	s_mov_b32 s18, s24
.LBB10_4:                               ;   Parent Loop BB10_2 Depth=1
                                        ;     Parent Loop BB10_3 Depth=2
                                        ; =>    This Inner Loop Header: Depth=3
	s_wait_xcnt 0x0
	v_dual_add_nc_u32 v9, v2, v8 :: v_dual_add_nc_u32 v13, v2, v7
	s_ashr_i32 s19, s18, 31
	v_add_nc_u32_e32 v7, 16, v7
	s_lshl_b64 s[34:35], s[18:19], 2
	s_delay_alu instid0(VALU_DEP_2)
	v_add_nc_u32_e32 v14, 8, v9
	s_add_nc_u64 s[34:35], s[6:7], s[34:35]
	s_add_co_i32 s19, s22, s26
	s_clause 0x2
	global_load_b32 v11, v9, s[0:1] scale_offset
	global_load_b32 v12, v13, s[0:1] scale_offset
	;; [unrolled: 1-line block ×3, first 2 shown]
	s_wait_xcnt 0x2
	v_add_nc_u32_e32 v9, 8, v13
	s_load_b32 s31, s[16:17], 0x0
	s_load_b32 s30, s[34:35], 0x0
	;; [unrolled: 1-line block ×3, first 2 shown]
	s_add_co_i32 s26, s26, 1
	s_wait_xcnt 0x0
	s_load_b32 s34, s[6:7], s19 offset:0x0 scale_offset
	s_add_co_i32 s18, s18, s4
	s_add_nc_u64 s[16:17], s[16:17], s[8:9]
	s_cmp_eq_u32 s4, s26
	s_add_nc_u64 s[14:15], s[14:15], 4
	v_add_nc_u32_e32 v8, s20, v8
	s_wait_kmcnt 0x0
	v_mov_b64_e32 v[16:17], s[30:31]
	s_wait_loadcnt 0x0
	v_dual_mov_b32 v20, v11 :: v_dual_mov_b32 v21, v10
	global_load_b32 v14, v9, s[0:1] scale_offset
	v_pk_fma_f32 v[18:19], s[28:29], v[10:11], v[0:1] op_sel_hi:[0,1,1] neg_lo:[1,0,0] neg_hi:[1,0,0]
	v_pk_fma_f32 v[0:1], s[28:29], v[10:11], v[0:1] op_sel_hi:[0,1,1]
	v_dual_mov_b32 v11, s30 :: v_dual_mov_b32 v10, s31
	s_delay_alu instid0(VALU_DEP_3) | instskip(NEXT) | instid1(VALU_DEP_3)
	v_pk_fma_f32 v[18:19], v[12:13], v[16:17], v[18:19] op_sel_hi:[0,1,1]
	v_pk_fma_f32 v[0:1], v[12:13], v[16:17], v[0:1] op_sel_hi:[0,1,1] neg_lo:[1,0,0] neg_hi:[1,0,0]
	s_delay_alu instid0(VALU_DEP_2) | instskip(NEXT) | instid1(VALU_DEP_1)
	v_mov_b32_e32 v1, v19
	v_pk_fma_f32 v[0:1], v[20:21], s[34:35], v[0:1] op_sel_hi:[1,0,1]
	s_wait_loadcnt 0x0
	s_delay_alu instid0(VALU_DEP_1)
	v_pk_fma_f32 v[0:1], v[10:11], v[14:15], v[0:1] op_sel_hi:[1,0,1] neg_lo:[1,0,0] neg_hi:[1,0,0]
	s_cbranch_scc0 .LBB10_4
; %bb.5:                                ;   in Loop: Header=BB10_3 Depth=2
	s_add_co_i32 s14, s25, s23
	v_add_nc_u32_e32 v6, 16, v6
	v_lshl_add_u32 v7, s14, 4, v2
	s_add_co_i32 s25, s25, 1
	s_add_co_i32 s24, s24, 1
	s_add_nc_u64 s[12:13], s[12:13], 4
	s_cmp_eq_u32 s25, s4
	v_add_nc_u32_e32 v8, v7, v3
	v_add_nc_u32_e32 v7, v4, v7
	s_clause 0x1
	global_load_b32 v9, v8, s[2:3] scale_offset
	global_load_b32 v10, v7, s[2:3] scale_offset
	s_wait_loadcnt 0x0
	v_dual_add_f32 v0, v0, v9 :: v_dual_add_f32 v1, v1, v10
	s_clause 0x1
	global_store_b32 v8, v0, s[2:3] scale_offset
	global_store_b32 v7, v1, s[2:3] scale_offset
	s_cbranch_scc0 .LBB10_3
; %bb.6:                                ;   in Loop: Header=BB10_2 Depth=1
	v_add_nc_u32_e32 v5, s20, v5
	s_add_co_i32 s5, s5, 1
	s_add_co_i32 s22, s22, s4
	s_cmp_eq_u32 s5, s4
	s_add_nc_u64 s[10:11], s[10:11], s[8:9]
	s_cbranch_scc0 .LBB10_2
.LBB10_7:
	s_endpgm
	.section	.rodata,"a",@progbits
	.p2align	6, 0x0
	.amdhsa_kernel _Z10comm_aosoaPK15HIP_vector_typeIfLj2EEPS0_S2_i
		.amdhsa_group_segment_fixed_size 0
		.amdhsa_private_segment_fixed_size 0
		.amdhsa_kernarg_size 28
		.amdhsa_user_sgpr_count 2
		.amdhsa_user_sgpr_dispatch_ptr 0
		.amdhsa_user_sgpr_queue_ptr 0
		.amdhsa_user_sgpr_kernarg_segment_ptr 1
		.amdhsa_user_sgpr_dispatch_id 0
		.amdhsa_user_sgpr_kernarg_preload_length 0
		.amdhsa_user_sgpr_kernarg_preload_offset 0
		.amdhsa_user_sgpr_private_segment_size 0
		.amdhsa_wavefront_size32 1
		.amdhsa_uses_dynamic_stack 0
		.amdhsa_enable_private_segment 0
		.amdhsa_system_sgpr_workgroup_id_x 1
		.amdhsa_system_sgpr_workgroup_id_y 1
		.amdhsa_system_sgpr_workgroup_id_z 0
		.amdhsa_system_sgpr_workgroup_info 0
		.amdhsa_system_vgpr_workitem_id 1
		.amdhsa_next_free_vgpr 22
		.amdhsa_next_free_sgpr 36
		.amdhsa_named_barrier_count 0
		.amdhsa_reserve_vcc 0
		.amdhsa_float_round_mode_32 0
		.amdhsa_float_round_mode_16_64 0
		.amdhsa_float_denorm_mode_32 3
		.amdhsa_float_denorm_mode_16_64 3
		.amdhsa_fp16_overflow 0
		.amdhsa_memory_ordered 1
		.amdhsa_forward_progress 1
		.amdhsa_inst_pref_size 5
		.amdhsa_round_robin_scheduling 0
		.amdhsa_exception_fp_ieee_invalid_op 0
		.amdhsa_exception_fp_denorm_src 0
		.amdhsa_exception_fp_ieee_div_zero 0
		.amdhsa_exception_fp_ieee_overflow 0
		.amdhsa_exception_fp_ieee_underflow 0
		.amdhsa_exception_fp_ieee_inexact 0
		.amdhsa_exception_int_div_zero 0
	.end_amdhsa_kernel
	.text
.Lfunc_end10:
	.size	_Z10comm_aosoaPK15HIP_vector_typeIfLj2EEPS0_S2_i, .Lfunc_end10-_Z10comm_aosoaPK15HIP_vector_typeIfLj2EEPS0_S2_i
                                        ; -- End function
	.set _Z10comm_aosoaPK15HIP_vector_typeIfLj2EEPS0_S2_i.num_vgpr, 22
	.set _Z10comm_aosoaPK15HIP_vector_typeIfLj2EEPS0_S2_i.num_agpr, 0
	.set _Z10comm_aosoaPK15HIP_vector_typeIfLj2EEPS0_S2_i.numbered_sgpr, 36
	.set _Z10comm_aosoaPK15HIP_vector_typeIfLj2EEPS0_S2_i.num_named_barrier, 0
	.set _Z10comm_aosoaPK15HIP_vector_typeIfLj2EEPS0_S2_i.private_seg_size, 0
	.set _Z10comm_aosoaPK15HIP_vector_typeIfLj2EEPS0_S2_i.uses_vcc, 0
	.set _Z10comm_aosoaPK15HIP_vector_typeIfLj2EEPS0_S2_i.uses_flat_scratch, 0
	.set _Z10comm_aosoaPK15HIP_vector_typeIfLj2EEPS0_S2_i.has_dyn_sized_stack, 0
	.set _Z10comm_aosoaPK15HIP_vector_typeIfLj2EEPS0_S2_i.has_recursion, 0
	.set _Z10comm_aosoaPK15HIP_vector_typeIfLj2EEPS0_S2_i.has_indirect_call, 0
	.section	.AMDGPU.csdata,"",@progbits
; Kernel info:
; codeLenInByte = 620
; TotalNumSgprs: 36
; NumVgprs: 22
; ScratchSize: 0
; MemoryBound: 0
; FloatMode: 240
; IeeeMode: 1
; LDSByteSize: 0 bytes/workgroup (compile time only)
; SGPRBlocks: 0
; VGPRBlocks: 1
; NumSGPRsForWavesPerEU: 36
; NumVGPRsForWavesPerEU: 22
; NamedBarCnt: 0
; Occupancy: 16
; WaveLimiterHint : 0
; COMPUTE_PGM_RSRC2:SCRATCH_EN: 0
; COMPUTE_PGM_RSRC2:USER_SGPR: 2
; COMPUTE_PGM_RSRC2:TRAP_HANDLER: 0
; COMPUTE_PGM_RSRC2:TGID_X_EN: 1
; COMPUTE_PGM_RSRC2:TGID_Y_EN: 1
; COMPUTE_PGM_RSRC2:TGID_Z_EN: 0
; COMPUTE_PGM_RSRC2:TIDIG_COMP_CNT: 1
	.text
	.protected	_Z20comm_aosoa_constantsPK15HIP_vector_typeIfLj2EEPS0_S2_ ; -- Begin function _Z20comm_aosoa_constantsPK15HIP_vector_typeIfLj2EEPS0_S2_
	.globl	_Z20comm_aosoa_constantsPK15HIP_vector_typeIfLj2EEPS0_S2_
	.p2align	8
	.type	_Z20comm_aosoa_constantsPK15HIP_vector_typeIfLj2EEPS0_S2_,@function
_Z20comm_aosoa_constantsPK15HIP_vector_typeIfLj2EEPS0_S2_: ; @_Z20comm_aosoa_constantsPK15HIP_vector_typeIfLj2EEPS0_S2_
; %bb.0:
	s_bfe_u32 s2, ttmp6, 0x40010
	s_bfe_u32 s3, ttmp6, 0x40004
	s_add_co_i32 s2, s2, 1
	s_getreg_b32 s4, hwreg(HW_REG_IB_STS2, 6, 4)
	s_mul_i32 s2, ttmp7, s2
	v_bfe_u32 v2, v0, 10, 10
	s_add_co_i32 s3, s3, s2
	s_cmp_eq_u32 s4, 0
	s_clause 0x1
	s_load_b128 s[4:7], s[0:1], 0x0
	s_load_b64 s[20:21], s[0:1], 0x10
	v_and_b32_e32 v0, 0x3ff, v0
	s_cselect_b32 s2, ttmp7, s3
	s_mov_b64 s[22:23], 0xfffffffffffffe94
	s_mul_i32 s3, s2, 0xc400
	v_lshl_add_u32 v1, s2, 6, v2
	v_or_b32_e32 v3, s3, v0
	s_mov_b64 s[24:25], 0xffffffffffffff58
	s_mov_b64 s[26:27], 0xfffffffffffffeb0
	s_mov_b64 s[28:29], 0xffffffffffffff74
	v_mul_lo_u32 v1, 0x310, v1
	v_mad_u32_u24 v2, 0x310, v2, v3
	v_add_nc_u32_e32 v3, 8, v0
	s_mov_b64 s[30:31], 0xfffffffffffffecc
	s_mov_b64 s[34:35], 0xffffffffffffff90
	;; [unrolled: 1-line block ×3, first 2 shown]
	v_mov_b32_e32 v4, v2
	s_mov_b64 s[38:39], 0xffffffffffffffac
	s_mov_b64 s[40:41], 0xffffffffffffff04
	;; [unrolled: 1-line block ×6, first 2 shown]
	s_mov_b32 s15, 0
	s_wait_kmcnt 0x0
	s_add_nc_u64 s[50:51], s[20:21], 0x16c
	s_mov_b32 s19, 0
.LBB11_1:                               ; =>This Loop Header: Depth=1
                                        ;     Child Loop BB11_2 Depth 2
	s_delay_alu instid0(SALU_CYCLE_1) | instskip(SKIP_3) | instid1(SALU_CYCLE_1)
	v_mad_u32 v5, 0x70, s19, v1
	s_mul_i32 s14, s19, 7
	s_mov_b32 s33, 0
	s_lshl_b32 s0, s14, 4
	v_add3_u32 v7, s0, 32, v1
	v_add3_u32 v6, s0, 16, v1
	;; [unrolled: 1-line block ×5, first 2 shown]
	v_dual_add_nc_u32 v17, v7, v0 :: v_dual_add_nc_u32 v18, v5, v0
	s_wait_xcnt 0x0
	v_dual_add_nc_u32 v19, v3, v5 :: v_dual_add_nc_u32 v20, v3, v7
	v_dual_add_nc_u32 v15, v6, v0 :: v_dual_add_nc_u32 v16, v3, v6
	v_add_nc_u32_e32 v21, v8, v0
	v_add_nc_u32_e32 v22, v3, v8
	s_clause 0x7
	global_load_b32 v5, v18, s[4:5] scale_offset
	global_load_b32 v6, v19, s[4:5] scale_offset
	;; [unrolled: 1-line block ×8, first 2 shown]
	s_wait_xcnt 0x5
	v_add3_u32 v15, 0x60, s0, v1
	s_wait_xcnt 0x2
	v_dual_add_nc_u32 v19, v13, v0 :: v_dual_add_nc_u32 v20, v3, v13
	s_wait_xcnt 0x0
	v_dual_add_nc_u32 v21, v14, v0 :: v_dual_add_nc_u32 v22, v3, v14
	v_add_nc_u32_e32 v23, v15, v0
	v_add_nc_u32_e32 v24, v3, v15
	s_clause 0x5
	global_load_b32 v13, v19, s[4:5] scale_offset
	global_load_b32 v14, v20, s[4:5] scale_offset
	global_load_b32 v15, v21, s[4:5] scale_offset
	global_load_b32 v16, v22, s[4:5] scale_offset
	global_load_b32 v17, v23, s[4:5] scale_offset
	global_load_b32 v18, v24, s[4:5] scale_offset
	s_lshl_b64 s[0:1], s[14:15], 2
	s_delay_alu instid0(SALU_CYCLE_1)
	s_add_nc_u64 s[52:53], s[20:21], s[0:1]
	s_clause 0x3
	s_load_b128 s[0:3], s[52:53], 0x0
	s_load_b96 s[12:14], s[52:53], 0x10
	s_load_b128 s[8:11], s[52:53], 0xc4
	s_load_b96 s[16:18], s[52:53], 0xd4
	s_wait_xcnt 0x0
	s_mov_b64 s[52:53], s[50:51]
.LBB11_2:                               ;   Parent Loop BB11_1 Depth=1
                                        ; =>  This Inner Loop Header: Depth=2
	s_wait_xcnt 0x0
	v_dual_add_nc_u32 v19, s33, v2 :: v_dual_add_nc_u32 v33, s33, v4
	s_add_nc_u64 s[54:55], s[52:53], s[22:23]
	s_add_nc_u64 s[56:57], s[52:53], s[24:25]
	s_add_co_i32 s33, s33, 16
	s_delay_alu instid0(VALU_DEP_1)
	v_dual_add_nc_u32 v20, 8, v19 :: v_dual_add_nc_u32 v34, 8, v33
	v_add_nc_u32_e32 v25, 0xe8, v19
	v_add_nc_u32_e32 v29, 0x1c8, v19
	s_clause 0x1
	global_load_b32 v21, v19, s[4:5] scale_offset
	global_load_b32 v20, v20, s[4:5] scale_offset
	v_add_nc_u32_e32 v23, 0x78, v19
	v_add_nc_u32_e32 v24, 0xe0, v19
	s_cmp_lg_u32 s33, 0x70
	s_wait_loadcnt 0x1
	s_wait_kmcnt 0x0
	v_fma_f32 v37, -s0, v21, 0
	v_add_nc_u32_e32 v22, 0x70, v19
	s_wait_loadcnt 0x0
	v_fma_f32 v38, s0, v20, 0
	s_clause 0x3
	global_load_b32 v22, v22, s[4:5] scale_offset
	global_load_b32 v23, v23, s[4:5] scale_offset
	;; [unrolled: 1-line block ×4, first 2 shown]
	v_add_nc_u32_e32 v26, 0x150, v19
	v_add_nc_u32_e32 v27, 0x158, v19
	s_clause 0x1
	global_load_b32 v26, v26, s[4:5] scale_offset
	global_load_b32 v27, v27, s[4:5] scale_offset
	v_add_nc_u32_e32 v28, 0x1c0, v19
	s_clause 0x1
	global_load_b32 v28, v28, s[4:5] scale_offset
	global_load_b32 v29, v29, s[4:5] scale_offset
	v_add_nc_u32_e32 v30, 0x230, v19
	v_add_nc_u32_e32 v31, 0x238, v19
	s_clause 0x1
	global_load_b32 v30, v30, s[4:5] scale_offset
	global_load_b32 v31, v31, s[4:5] scale_offset
	v_add_nc_u32_e32 v32, 0x2a0, v19
	s_wait_xcnt 0xb
	v_add_nc_u32_e32 v19, 0x2a8, v19
	s_clause 0x1
	global_load_b32 v32, v32, s[4:5] scale_offset
	global_load_b32 v19, v19, s[4:5] scale_offset
	s_clause 0x1
	global_load_b32 v35, v33, s[6:7] scale_offset
	global_load_b32 v36, v34, s[6:7] scale_offset
	s_clause 0x1
	s_load_b32 s58, s[54:55], 0x0
	s_load_b32 s59, s[56:57], 0x0
	s_wait_xcnt 0x0
	s_add_nc_u64 s[54:55], s[52:53], s[26:27]
	s_add_nc_u64 s[56:57], s[52:53], s[28:29]
	s_clause 0x1
	s_load_b32 s60, s[54:55], 0x0
	s_load_b32 s61, s[56:57], 0x0
	s_wait_xcnt 0x0
	s_add_nc_u64 s[54:55], s[52:53], s[30:31]
	s_add_nc_u64 s[56:57], s[52:53], s[34:35]
	s_wait_kmcnt 0x0
	v_fmac_f32_e32 v37, s58, v5
	v_fma_f32 v38, -v5, s59, v38
	s_delay_alu instid0(VALU_DEP_1) | instskip(NEXT) | instid1(VALU_DEP_1)
	v_dual_fmac_f32 v37, s8, v20 :: v_dual_fmac_f32 v38, s8, v21
	v_fma_f32 v20, -v6, s59, v37
	s_wait_loadcnt 0xd
	s_delay_alu instid0(VALU_DEP_1) | instskip(NEXT) | instid1(VALU_DEP_3)
	v_fma_f32 v20, -s1, v22, v20
	v_fma_f32 v21, -s58, v6, v38
	s_clause 0x1
	s_load_b32 s58, s[54:55], 0x0
	s_load_b32 s59, s[56:57], 0x0
	s_wait_xcnt 0x0
	s_add_nc_u64 s[54:55], s[52:53], s[36:37]
	s_add_nc_u64 s[56:57], s[52:53], s[38:39]
	v_fmac_f32_e32 v20, s60, v7
	s_wait_loadcnt 0xc
	v_fmac_f32_e32 v21, s1, v23
	s_delay_alu instid0(VALU_DEP_1) | instskip(NEXT) | instid1(VALU_DEP_1)
	v_fma_f32 v21, -v7, s61, v21
	v_dual_fmac_f32 v21, s9, v22 :: v_dual_fmac_f32 v20, s9, v23
	s_delay_alu instid0(VALU_DEP_1) | instskip(NEXT) | instid1(VALU_DEP_2)
	v_fma_f32 v21, -s60, v8, v21
	v_fma_f32 v20, -v8, s61, v20
	s_clause 0x1
	s_load_b32 s60, s[54:55], 0x0
	s_load_b32 s61, s[56:57], 0x0
	s_wait_xcnt 0x0
	s_add_nc_u64 s[54:55], s[52:53], s[40:41]
	s_add_nc_u64 s[56:57], s[52:53], s[42:43]
	s_wait_loadcnt 0xa
	v_fmac_f32_e32 v21, s2, v25
	s_wait_kmcnt 0x0
	s_delay_alu instid0(VALU_DEP_1) | instskip(NEXT) | instid1(VALU_DEP_1)
	v_fma_f32 v21, -v9, s59, v21
	v_dual_fmac_f32 v21, s10, v24 :: v_dual_fma_f32 v20, -s2, v24, v20
	s_delay_alu instid0(VALU_DEP_1) | instskip(SKIP_1) | instid1(VALU_DEP_1)
	v_dual_fma_f32 v21, -s58, v10, v21 :: v_dual_fmac_f32 v20, s58, v9
	s_wait_loadcnt 0x8
	v_dual_fmac_f32 v21, s3, v27 :: v_dual_fmac_f32 v20, s10, v25
	s_delay_alu instid0(VALU_DEP_1) | instskip(NEXT) | instid1(VALU_DEP_2)
	v_fma_f32 v21, -v11, s61, v21
	v_fma_f32 v20, -v10, s59, v20
	s_clause 0x1
	s_load_b32 s58, s[54:55], 0x0
	s_load_b32 s59, s[56:57], 0x0
	s_wait_xcnt 0x0
	s_add_nc_u64 s[54:55], s[52:53], s[44:45]
	s_add_nc_u64 s[56:57], s[52:53], s[46:47]
	v_dual_fmac_f32 v21, s11, v26 :: v_dual_fma_f32 v20, -s3, v26, v20
	s_delay_alu instid0(VALU_DEP_1)
	v_dual_fma_f32 v21, -s60, v12, v21 :: v_dual_fmac_f32 v20, s60, v11
	s_clause 0x1
	s_load_b32 s60, s[54:55], 0x0
	s_nop 0
	s_load_b32 s56, s[56:57], 0x0
	s_wait_xcnt 0x0
	s_add_nc_u64 s[54:55], s[52:53], s[48:49]
	s_clause 0x1
	s_load_b32 s57, s[52:53], 0x0
	s_nop 0
	s_load_b32 s54, s[54:55], 0x0
	s_wait_xcnt 0x0
	s_add_nc_u64 s[52:53], s[52:53], 4
	s_wait_loadcnt 0x6
	v_dual_fmac_f32 v20, s11, v27 :: v_dual_fmac_f32 v21, s12, v29
	s_delay_alu instid0(VALU_DEP_1) | instskip(SKIP_1) | instid1(VALU_DEP_2)
	v_fma_f32 v20, -v12, s61, v20
	s_wait_kmcnt 0x0
	v_fma_f32 v21, -v13, s59, v21
	s_delay_alu instid0(VALU_DEP_1) | instskip(NEXT) | instid1(VALU_DEP_1)
	v_dual_fma_f32 v20, -s12, v28, v20 :: v_dual_fmac_f32 v21, s16, v28
	v_fmac_f32_e32 v20, s58, v13
	s_delay_alu instid0(VALU_DEP_1) | instskip(NEXT) | instid1(VALU_DEP_1)
	v_fmac_f32_e32 v20, s16, v29
	v_fma_f32 v20, -v14, s59, v20
	s_wait_loadcnt 0x5
	s_delay_alu instid0(VALU_DEP_1) | instskip(NEXT) | instid1(VALU_DEP_1)
	v_fma_f32 v20, -s13, v30, v20
	v_dual_fma_f32 v21, -s58, v14, v21 :: v_dual_fmac_f32 v20, s60, v15
	s_wait_loadcnt 0x4
	s_delay_alu instid0(VALU_DEP_1) | instskip(NEXT) | instid1(VALU_DEP_1)
	v_fmac_f32_e32 v21, s13, v31
	v_fma_f32 v21, -v15, s56, v21
	s_delay_alu instid0(VALU_DEP_1) | instskip(NEXT) | instid1(VALU_DEP_1)
	v_dual_fmac_f32 v20, s17, v31 :: v_dual_fmac_f32 v21, s17, v30
	v_fma_f32 v20, -v16, s56, v20
	s_wait_loadcnt 0x3
	s_delay_alu instid0(VALU_DEP_1) | instskip(NEXT) | instid1(VALU_DEP_1)
	v_fma_f32 v20, -s14, v32, v20
	v_dual_fmac_f32 v20, s54, v17 :: v_dual_fma_f32 v21, -s60, v16, v21
	s_wait_loadcnt 0x2
	s_delay_alu instid0(VALU_DEP_1) | instskip(NEXT) | instid1(VALU_DEP_1)
	v_dual_fmac_f32 v20, s18, v19 :: v_dual_fmac_f32 v21, s14, v19
	v_fma_f32 v19, -v18, s57, v20
	s_delay_alu instid0(VALU_DEP_2) | instskip(SKIP_1) | instid1(VALU_DEP_2)
	v_fma_f32 v21, -v17, s57, v21
	s_wait_loadcnt 0x0
	v_add_f32_e32 v19, v19, v36
	s_delay_alu instid0(VALU_DEP_2) | instskip(NEXT) | instid1(VALU_DEP_1)
	v_fmac_f32_e32 v21, s18, v32
	v_fma_f32 v20, -s54, v18, v21
	s_delay_alu instid0(VALU_DEP_1)
	v_add_f32_e32 v20, v20, v35
	s_clause 0x1
	global_store_b32 v33, v20, s[6:7] scale_offset
	global_store_b32 v34, v19, s[6:7] scale_offset
	s_cbranch_scc1 .LBB11_2
; %bb.3:                                ;   in Loop: Header=BB11_1 Depth=1
	v_add_nc_u32_e32 v4, 0x70, v4
	s_add_co_i32 s19, s19, 1
	s_delay_alu instid0(SALU_CYCLE_1)
	s_cmp_eq_u32 s19, 7
	s_cbranch_scc0 .LBB11_1
; %bb.4:
	s_endpgm
	.section	.rodata,"a",@progbits
	.p2align	6, 0x0
	.amdhsa_kernel _Z20comm_aosoa_constantsPK15HIP_vector_typeIfLj2EEPS0_S2_
		.amdhsa_group_segment_fixed_size 0
		.amdhsa_private_segment_fixed_size 0
		.amdhsa_kernarg_size 24
		.amdhsa_user_sgpr_count 2
		.amdhsa_user_sgpr_dispatch_ptr 0
		.amdhsa_user_sgpr_queue_ptr 0
		.amdhsa_user_sgpr_kernarg_segment_ptr 1
		.amdhsa_user_sgpr_dispatch_id 0
		.amdhsa_user_sgpr_kernarg_preload_length 0
		.amdhsa_user_sgpr_kernarg_preload_offset 0
		.amdhsa_user_sgpr_private_segment_size 0
		.amdhsa_wavefront_size32 1
		.amdhsa_uses_dynamic_stack 0
		.amdhsa_enable_private_segment 0
		.amdhsa_system_sgpr_workgroup_id_x 1
		.amdhsa_system_sgpr_workgroup_id_y 1
		.amdhsa_system_sgpr_workgroup_id_z 0
		.amdhsa_system_sgpr_workgroup_info 0
		.amdhsa_system_vgpr_workitem_id 1
		.amdhsa_next_free_vgpr 39
		.amdhsa_next_free_sgpr 62
		.amdhsa_named_barrier_count 0
		.amdhsa_reserve_vcc 0
		.amdhsa_float_round_mode_32 0
		.amdhsa_float_round_mode_16_64 0
		.amdhsa_float_denorm_mode_32 3
		.amdhsa_float_denorm_mode_16_64 3
		.amdhsa_fp16_overflow 0
		.amdhsa_memory_ordered 1
		.amdhsa_forward_progress 1
		.amdhsa_inst_pref_size 15
		.amdhsa_round_robin_scheduling 0
		.amdhsa_exception_fp_ieee_invalid_op 0
		.amdhsa_exception_fp_denorm_src 0
		.amdhsa_exception_fp_ieee_div_zero 0
		.amdhsa_exception_fp_ieee_overflow 0
		.amdhsa_exception_fp_ieee_underflow 0
		.amdhsa_exception_fp_ieee_inexact 0
		.amdhsa_exception_int_div_zero 0
	.end_amdhsa_kernel
	.text
.Lfunc_end11:
	.size	_Z20comm_aosoa_constantsPK15HIP_vector_typeIfLj2EEPS0_S2_, .Lfunc_end11-_Z20comm_aosoa_constantsPK15HIP_vector_typeIfLj2EEPS0_S2_
                                        ; -- End function
	.set _Z20comm_aosoa_constantsPK15HIP_vector_typeIfLj2EEPS0_S2_.num_vgpr, 39
	.set _Z20comm_aosoa_constantsPK15HIP_vector_typeIfLj2EEPS0_S2_.num_agpr, 0
	.set _Z20comm_aosoa_constantsPK15HIP_vector_typeIfLj2EEPS0_S2_.numbered_sgpr, 62
	.set _Z20comm_aosoa_constantsPK15HIP_vector_typeIfLj2EEPS0_S2_.num_named_barrier, 0
	.set _Z20comm_aosoa_constantsPK15HIP_vector_typeIfLj2EEPS0_S2_.private_seg_size, 0
	.set _Z20comm_aosoa_constantsPK15HIP_vector_typeIfLj2EEPS0_S2_.uses_vcc, 0
	.set _Z20comm_aosoa_constantsPK15HIP_vector_typeIfLj2EEPS0_S2_.uses_flat_scratch, 0
	.set _Z20comm_aosoa_constantsPK15HIP_vector_typeIfLj2EEPS0_S2_.has_dyn_sized_stack, 0
	.set _Z20comm_aosoa_constantsPK15HIP_vector_typeIfLj2EEPS0_S2_.has_recursion, 0
	.set _Z20comm_aosoa_constantsPK15HIP_vector_typeIfLj2EEPS0_S2_.has_indirect_call, 0
	.section	.AMDGPU.csdata,"",@progbits
; Kernel info:
; codeLenInByte = 1804
; TotalNumSgprs: 62
; NumVgprs: 39
; ScratchSize: 0
; MemoryBound: 0
; FloatMode: 240
; IeeeMode: 1
; LDSByteSize: 0 bytes/workgroup (compile time only)
; SGPRBlocks: 0
; VGPRBlocks: 2
; NumSGPRsForWavesPerEU: 62
; NumVGPRsForWavesPerEU: 39
; NamedBarCnt: 0
; Occupancy: 16
; WaveLimiterHint : 0
; COMPUTE_PGM_RSRC2:SCRATCH_EN: 0
; COMPUTE_PGM_RSRC2:USER_SGPR: 2
; COMPUTE_PGM_RSRC2:TRAP_HANDLER: 0
; COMPUTE_PGM_RSRC2:TGID_X_EN: 1
; COMPUTE_PGM_RSRC2:TGID_Y_EN: 1
; COMPUTE_PGM_RSRC2:TGID_Z_EN: 0
; COMPUTE_PGM_RSRC2:TIDIG_COMP_CNT: 1
	.text
	.protected	_Z25comm_aosoa_constants_permPK15HIP_vector_typeIfLj2EEPS0_S2_ ; -- Begin function _Z25comm_aosoa_constants_permPK15HIP_vector_typeIfLj2EEPS0_S2_
	.globl	_Z25comm_aosoa_constants_permPK15HIP_vector_typeIfLj2EEPS0_S2_
	.p2align	8
	.type	_Z25comm_aosoa_constants_permPK15HIP_vector_typeIfLj2EEPS0_S2_,@function
_Z25comm_aosoa_constants_permPK15HIP_vector_typeIfLj2EEPS0_S2_: ; @_Z25comm_aosoa_constants_permPK15HIP_vector_typeIfLj2EEPS0_S2_
; %bb.0:
	s_bfe_u32 s2, ttmp6, 0x40010
	s_bfe_u32 s3, ttmp6, 0x40004
	s_add_co_i32 s2, s2, 1
	s_getreg_b32 s4, hwreg(HW_REG_IB_STS2, 6, 4)
	s_mul_i32 s2, ttmp7, s2
	v_bfe_u32 v1, v0, 10, 10
	s_add_co_i32 s3, s3, s2
	s_cmp_eq_u32 s4, 0
	s_clause 0x1
	s_load_b128 s[4:7], s[0:1], 0x0
	s_load_b64 s[20:21], s[0:1], 0x10
	s_wait_xcnt 0x0
	s_cselect_b32 s0, ttmp7, s3
	v_and_b32_e32 v30, 0x3ff, v0
	v_lshl_add_u32 v0, s0, 6, v1
	s_mul_i32 s0, s0, 0xc400
	v_mul_u32_u24_e32 v33, 0x310, v1
	s_mov_b64 s[22:23], 0xc4
	v_dual_add_nc_u32 v31, 8, v30 :: v_dual_bitop2_b32 v34, s0, v30 bitop3:0x54
	v_mul_lo_u32 v32, 0x310, v0
	v_mov_b32_e32 v1, 0
	s_mov_b64 s[24:25], 0xffffffffffffff3c
	s_mov_b32 s15, 0
	v_mov_b32_e32 v35, v34
.LBB12_1:                               ; =>This Loop Header: Depth=1
                                        ;     Child Loop BB12_2 Depth 2
	s_delay_alu instid0(VALU_DEP_3) | instskip(SKIP_2) | instid1(VALU_DEP_1)
	v_mad_u32 v24, 0x70, s15, v32
	s_mov_b64 s[26:27], 0
	s_mov_b64 s[28:29], s[22:23]
	v_dual_mov_b32 v36, v35 :: v_dual_add_nc_u32 v0, v24, v30
	v_dual_add_nc_u32 v8, 16, v24 :: v_dual_add_nc_u32 v12, 32, v24
	v_dual_add_nc_u32 v16, 48, v24 :: v_dual_add_nc_u32 v20, 64, v24
	s_wait_kmcnt 0x0
	s_delay_alu instid0(VALU_DEP_3) | instskip(SKIP_4) | instid1(VALU_DEP_3)
	v_lshl_add_u64 v[2:3], v[0:1], 2, s[6:7]
	v_add_nc_u32_e32 v0, v31, v24
	v_add_nc_u32_e32 v25, 0x50, v24
	s_wait_xcnt 0x0
	v_add_nc_u32_e32 v28, 0x60, v24
	v_lshl_add_u64 v[4:5], v[0:1], 2, s[6:7]
	v_add_nc_u32_e32 v0, v8, v30
	s_delay_alu instid0(VALU_DEP_1) | instskip(SKIP_1) | instid1(VALU_DEP_1)
	v_lshl_add_u64 v[6:7], v[0:1], 2, s[6:7]
	v_add_nc_u32_e32 v0, v31, v8
	v_lshl_add_u64 v[8:9], v[0:1], 2, s[6:7]
	v_add_nc_u32_e32 v0, v12, v30
	s_delay_alu instid0(VALU_DEP_1) | instskip(SKIP_1) | instid1(VALU_DEP_1)
	v_lshl_add_u64 v[10:11], v[0:1], 2, s[6:7]
	;; [unrolled: 5-line block ×6, first 2 shown]
	v_add_nc_u32_e32 v0, v31, v28
	v_lshl_add_u64 v[28:29], v[0:1], 2, s[6:7]
	v_mov_b32_e32 v0, v34
.LBB12_2:                               ;   Parent Loop BB12_1 Depth=1
                                        ; =>  This Inner Loop Header: Depth=2
	s_wait_xcnt 0x0
	v_add_nc_u32_e32 v38, v33, v36
	s_delay_alu instid0(VALU_DEP_2)
	v_add_nc_u32_e32 v37, v33, v0
	s_clause 0x1
	global_load_b32 v39, v[2:3], off
	global_load_b32 v40, v[4:5], off
	s_add_nc_u64 s[34:35], s[20:21], s[28:29]
	s_add_nc_u64 s[36:37], s[20:21], s[26:27]
	global_load_b32 v42, v38, s[4:5] scale_offset
	s_wait_xcnt 0x0
	v_dual_add_nc_u32 v38, 8, v38 :: v_dual_add_nc_u32 v41, 8, v37
	s_add_nc_u64 s[38:39], s[34:35], s[24:25]
	v_dual_add_nc_u32 v46, 32, v37 :: v_dual_add_nc_u32 v47, 40, v37
	s_clause 0x2
	global_load_b32 v43, v41, s[4:5] scale_offset
	global_load_b32 v44, v37, s[4:5] scale_offset
	;; [unrolled: 1-line block ×3, first 2 shown]
	s_clause 0x5
	s_load_b128 s[0:3], s[36:37], 0x0
	s_load_b96 s[12:14], s[36:37], 0x10
	s_load_b96 s[16:18], s[36:37], 0xd4
	s_load_b128 s[8:11], s[36:37], 0xc4
	s_load_b32 s30, s[38:39], 0x0
	s_load_b32 s19, s[34:35], 0x0
	v_dual_add_nc_u32 v38, 16, v37 :: v_dual_add_nc_u32 v41, 24, v37
	v_dual_add_nc_u32 v50, 64, v37 :: v_dual_add_nc_u32 v48, 48, v37
	v_add_nc_u32_e32 v49, 56, v37
	v_add_nc_u32_e32 v0, 0x70, v0
	;; [unrolled: 1-line block ×3, first 2 shown]
	s_add_nc_u64 s[26:27], s[26:27], 28
	s_add_nc_u64 s[28:29], s[28:29], 4
	s_cmp_eq_u32 s26, 0xc4
	s_wait_loadcnt 0x2
	s_wait_kmcnt 0x0
	v_fmac_f32_e32 v39, s30, v43
	s_clause 0x6
	global_load_b32 v51, v38, s[4:5] scale_offset
	global_load_b32 v52, v41, s[4:5] scale_offset
	;; [unrolled: 1-line block ×7, first 2 shown]
	v_fma_f32 v39, -v42, s8, v39
	s_wait_loadcnt 0x8
	s_wait_xcnt 0x6
	s_delay_alu instid0(VALU_DEP_1) | instskip(NEXT) | instid1(VALU_DEP_1)
	v_dual_fma_f32 v38, -s30, v44, v40 :: v_dual_fmac_f32 v39, s19, v44
	v_fmac_f32_e32 v38, s0, v42
	v_add_nc_u32_e32 v44, 0x60, v37
	s_wait_loadcnt 0x7
	s_delay_alu instid0(VALU_DEP_3) | instskip(NEXT) | instid1(VALU_DEP_3)
	v_fma_f32 v39, -v45, s0, v39
	v_dual_fmac_f32 v38, s19, v43 :: v_dual_add_nc_u32 v43, 0x58, v37
	s_delay_alu instid0(VALU_DEP_1)
	v_fma_f32 v38, -v45, s8, v38
	s_clause 0x3
	global_store_b32 v[2:3], v39, off
	global_store_b32 v[4:5], v38, off
	global_load_b32 v38, v[6:7], off
	global_load_b32 v39, v[8:9], off
	s_wait_loadcnt 0x0
	v_fma_f32 v39, -s30, v51, v39
	s_delay_alu instid0(VALU_DEP_1) | instskip(NEXT) | instid1(VALU_DEP_1)
	v_dual_fmac_f32 v39, s1, v42 :: v_dual_fmac_f32 v38, s30, v52
	v_fmac_f32_e32 v39, s19, v52
	s_delay_alu instid0(VALU_DEP_2) | instskip(NEXT) | instid1(VALU_DEP_2)
	v_fma_f32 v38, -v42, s9, v38
	v_fma_f32 v39, -v45, s9, v39
	s_delay_alu instid0(VALU_DEP_2) | instskip(NEXT) | instid1(VALU_DEP_1)
	v_fmac_f32_e32 v38, s19, v51
	v_fma_f32 v38, -v45, s1, v38
	s_clause 0x3
	global_store_b32 v[6:7], v38, off
	global_store_b32 v[8:9], v39, off
	global_load_b32 v38, v[10:11], off
	global_load_b32 v39, v[12:13], off
	s_wait_loadcnt 0x0
	v_fma_f32 v39, -s30, v53, v39
	s_delay_alu instid0(VALU_DEP_1) | instskip(NEXT) | instid1(VALU_DEP_1)
	v_fmac_f32_e32 v39, s2, v42
	v_dual_fmac_f32 v38, s30, v54 :: v_dual_fmac_f32 v39, s19, v54
	s_delay_alu instid0(VALU_DEP_1) | instskip(NEXT) | instid1(VALU_DEP_2)
	v_fma_f32 v38, -v42, s10, v38
	v_fma_f32 v39, -v45, s10, v39
	s_delay_alu instid0(VALU_DEP_2) | instskip(NEXT) | instid1(VALU_DEP_1)
	v_fmac_f32_e32 v38, s19, v53
	v_fma_f32 v38, -v45, s2, v38
	s_clause 0x3
	global_store_b32 v[10:11], v38, off
	global_store_b32 v[12:13], v39, off
	global_load_b32 v38, v[14:15], off
	global_load_b32 v39, v[16:17], off
	s_wait_loadcnt 0x0
	v_dual_fmac_f32 v38, s30, v56 :: v_dual_fma_f32 v39, -s30, v55, v39
	v_add_nc_u32_e32 v40, 0x48, v37
	s_delay_alu instid0(VALU_DEP_2) | instskip(NEXT) | instid1(VALU_DEP_3)
	v_fma_f32 v38, -v42, s11, v38
	v_fmac_f32_e32 v39, s3, v42
	global_load_b32 v40, v40, s[4:5] scale_offset
	v_dual_fmac_f32 v38, s19, v55 :: v_dual_fmac_f32 v39, s19, v56
	s_delay_alu instid0(VALU_DEP_1) | instskip(NEXT) | instid1(VALU_DEP_2)
	v_fma_f32 v38, -v45, s3, v38
	v_fma_f32 v39, -v45, s11, v39
	s_clause 0x3
	global_store_b32 v[14:15], v38, off
	global_store_b32 v[16:17], v39, off
	global_load_b32 v38, v[18:19], off
	global_load_b32 v39, v[20:21], off
	v_add_nc_u32_e32 v41, 0x50, v37
	s_wait_loadcnt 0x1
	v_dual_fmac_f32 v38, s30, v40 :: v_dual_add_nc_u32 v37, 0x68, v37
	s_clause 0x3
	global_load_b32 v46, v41, s[4:5] scale_offset
	global_load_b32 v47, v43, s[4:5] scale_offset
	;; [unrolled: 1-line block ×4, first 2 shown]
	v_fma_f32 v38, -v42, s16, v38
	s_wait_loadcnt 0x4
	s_wait_xcnt 0x0
	s_delay_alu instid0(VALU_DEP_1) | instskip(NEXT) | instid1(VALU_DEP_1)
	v_dual_fma_f32 v37, -s30, v57, v39 :: v_dual_fmac_f32 v38, s19, v57
	v_fmac_f32_e32 v37, s12, v42
	s_delay_alu instid0(VALU_DEP_2) | instskip(NEXT) | instid1(VALU_DEP_2)
	v_fma_f32 v38, -v45, s12, v38
	v_fmac_f32_e32 v37, s19, v40
	s_delay_alu instid0(VALU_DEP_1)
	v_fma_f32 v37, -v45, s16, v37
	s_clause 0x3
	global_store_b32 v[18:19], v38, off
	global_store_b32 v[20:21], v37, off
	global_load_b32 v37, v[22:23], off
	global_load_b32 v38, v[24:25], off
	s_wait_loadcnt 0x0
	v_dual_fmac_f32 v37, s30, v47 :: v_dual_fma_f32 v38, -s30, v46, v38
	s_delay_alu instid0(VALU_DEP_1) | instskip(NEXT) | instid1(VALU_DEP_2)
	v_fma_f32 v37, -v42, s17, v37
	v_fmac_f32_e32 v38, s13, v42
	s_delay_alu instid0(VALU_DEP_1) | instskip(NEXT) | instid1(VALU_DEP_1)
	v_dual_fmac_f32 v37, s19, v46 :: v_dual_fmac_f32 v38, s19, v47
	v_fma_f32 v37, -v45, s13, v37
	s_delay_alu instid0(VALU_DEP_2)
	v_fma_f32 v38, -v45, s17, v38
	s_clause 0x3
	global_store_b32 v[22:23], v37, off
	global_store_b32 v[24:25], v38, off
	global_load_b32 v37, v[26:27], off
	global_load_b32 v38, v[28:29], off
	s_wait_loadcnt 0x0
	v_dual_fma_f32 v38, -s30, v48, v38 :: v_dual_fmac_f32 v37, s30, v49
	s_delay_alu instid0(VALU_DEP_1) | instskip(NEXT) | instid1(VALU_DEP_2)
	v_fmac_f32_e32 v38, s14, v42
	v_fma_f32 v37, -v42, s18, v37
	s_delay_alu instid0(VALU_DEP_1) | instskip(NEXT) | instid1(VALU_DEP_1)
	v_dual_fmac_f32 v38, s19, v49 :: v_dual_fmac_f32 v37, s19, v48
	v_fma_f32 v38, -v45, s18, v38
	s_delay_alu instid0(VALU_DEP_2)
	v_fma_f32 v37, -v45, s14, v37
	s_clause 0x1
	global_store_b32 v[26:27], v37, off
	global_store_b32 v[28:29], v38, off
	s_cbranch_scc0 .LBB12_2
; %bb.3:                                ;   in Loop: Header=BB12_1 Depth=1
	v_add_nc_u32_e32 v35, 0x70, v35
	s_add_co_i32 s15, s15, 1
	s_add_nc_u64 s[22:23], s[22:23], 28
	s_cmp_eq_u32 s15, 7
	s_cbranch_scc0 .LBB12_1
; %bb.4:
	s_endpgm
	.section	.rodata,"a",@progbits
	.p2align	6, 0x0
	.amdhsa_kernel _Z25comm_aosoa_constants_permPK15HIP_vector_typeIfLj2EEPS0_S2_
		.amdhsa_group_segment_fixed_size 0
		.amdhsa_private_segment_fixed_size 0
		.amdhsa_kernarg_size 24
		.amdhsa_user_sgpr_count 2
		.amdhsa_user_sgpr_dispatch_ptr 0
		.amdhsa_user_sgpr_queue_ptr 0
		.amdhsa_user_sgpr_kernarg_segment_ptr 1
		.amdhsa_user_sgpr_dispatch_id 0
		.amdhsa_user_sgpr_kernarg_preload_length 0
		.amdhsa_user_sgpr_kernarg_preload_offset 0
		.amdhsa_user_sgpr_private_segment_size 0
		.amdhsa_wavefront_size32 1
		.amdhsa_uses_dynamic_stack 0
		.amdhsa_enable_private_segment 0
		.amdhsa_system_sgpr_workgroup_id_x 1
		.amdhsa_system_sgpr_workgroup_id_y 1
		.amdhsa_system_sgpr_workgroup_id_z 0
		.amdhsa_system_sgpr_workgroup_info 0
		.amdhsa_system_vgpr_workitem_id 1
		.amdhsa_next_free_vgpr 58
		.amdhsa_next_free_sgpr 40
		.amdhsa_named_barrier_count 0
		.amdhsa_reserve_vcc 0
		.amdhsa_float_round_mode_32 0
		.amdhsa_float_round_mode_16_64 0
		.amdhsa_float_denorm_mode_32 3
		.amdhsa_float_denorm_mode_16_64 3
		.amdhsa_fp16_overflow 0
		.amdhsa_memory_ordered 1
		.amdhsa_forward_progress 1
		.amdhsa_inst_pref_size 14
		.amdhsa_round_robin_scheduling 0
		.amdhsa_exception_fp_ieee_invalid_op 0
		.amdhsa_exception_fp_denorm_src 0
		.amdhsa_exception_fp_ieee_div_zero 0
		.amdhsa_exception_fp_ieee_overflow 0
		.amdhsa_exception_fp_ieee_underflow 0
		.amdhsa_exception_fp_ieee_inexact 0
		.amdhsa_exception_int_div_zero 0
	.end_amdhsa_kernel
	.text
.Lfunc_end12:
	.size	_Z25comm_aosoa_constants_permPK15HIP_vector_typeIfLj2EEPS0_S2_, .Lfunc_end12-_Z25comm_aosoa_constants_permPK15HIP_vector_typeIfLj2EEPS0_S2_
                                        ; -- End function
	.set _Z25comm_aosoa_constants_permPK15HIP_vector_typeIfLj2EEPS0_S2_.num_vgpr, 58
	.set _Z25comm_aosoa_constants_permPK15HIP_vector_typeIfLj2EEPS0_S2_.num_agpr, 0
	.set _Z25comm_aosoa_constants_permPK15HIP_vector_typeIfLj2EEPS0_S2_.numbered_sgpr, 40
	.set _Z25comm_aosoa_constants_permPK15HIP_vector_typeIfLj2EEPS0_S2_.num_named_barrier, 0
	.set _Z25comm_aosoa_constants_permPK15HIP_vector_typeIfLj2EEPS0_S2_.private_seg_size, 0
	.set _Z25comm_aosoa_constants_permPK15HIP_vector_typeIfLj2EEPS0_S2_.uses_vcc, 0
	.set _Z25comm_aosoa_constants_permPK15HIP_vector_typeIfLj2EEPS0_S2_.uses_flat_scratch, 0
	.set _Z25comm_aosoa_constants_permPK15HIP_vector_typeIfLj2EEPS0_S2_.has_dyn_sized_stack, 0
	.set _Z25comm_aosoa_constants_permPK15HIP_vector_typeIfLj2EEPS0_S2_.has_recursion, 0
	.set _Z25comm_aosoa_constants_permPK15HIP_vector_typeIfLj2EEPS0_S2_.has_indirect_call, 0
	.section	.AMDGPU.csdata,"",@progbits
; Kernel info:
; codeLenInByte = 1712
; TotalNumSgprs: 40
; NumVgprs: 58
; ScratchSize: 0
; MemoryBound: 0
; FloatMode: 240
; IeeeMode: 1
; LDSByteSize: 0 bytes/workgroup (compile time only)
; SGPRBlocks: 0
; VGPRBlocks: 3
; NumSGPRsForWavesPerEU: 40
; NumVGPRsForWavesPerEU: 58
; NamedBarCnt: 0
; Occupancy: 16
; WaveLimiterHint : 1
; COMPUTE_PGM_RSRC2:SCRATCH_EN: 0
; COMPUTE_PGM_RSRC2:USER_SGPR: 2
; COMPUTE_PGM_RSRC2:TRAP_HANDLER: 0
; COMPUTE_PGM_RSRC2:TGID_X_EN: 1
; COMPUTE_PGM_RSRC2:TGID_Y_EN: 1
; COMPUTE_PGM_RSRC2:TGID_Z_EN: 0
; COMPUTE_PGM_RSRC2:TIDIG_COMP_CNT: 1
	.text
	.protected	_Z17comm_aosoa_directPK15HIP_vector_typeIfLj2EEPS0_S2_i ; -- Begin function _Z17comm_aosoa_directPK15HIP_vector_typeIfLj2EEPS0_S2_i
	.globl	_Z17comm_aosoa_directPK15HIP_vector_typeIfLj2EEPS0_S2_i
	.p2align	8
	.type	_Z17comm_aosoa_directPK15HIP_vector_typeIfLj2EEPS0_S2_i,@function
_Z17comm_aosoa_directPK15HIP_vector_typeIfLj2EEPS0_S2_i: ; @_Z17comm_aosoa_directPK15HIP_vector_typeIfLj2EEPS0_S2_i
; %bb.0:
	s_load_b32 s2, s[0:1], 0x18
	s_wait_kmcnt 0x0
	s_cmp_lt_i32 s2, 1
	s_cbranch_scc1 .LBB13_7
; %bb.1:
	s_bfe_u32 s3, ttmp6, 0x40010
	s_clause 0x1
	s_load_b128 s[4:7], s[0:1], 0x0
	s_load_b64 s[8:9], s[0:1], 0x10
	s_add_co_i32 s3, s3, 1
	s_wait_xcnt 0x0
	s_bfe_u32 s1, ttmp6, 0x40004
	s_mul_i32 s0, ttmp7, s3
	s_lshl_b32 s20, s2, 4
	s_add_co_i32 s1, s1, s0
	s_getreg_b32 s0, hwreg(HW_REG_IB_STS2, 6, 4)
	v_bfe_u32 v1, v0, 10, 10
	s_cmp_eq_u32 s0, 0
	v_and_b32_e32 v8, 0x3ff, v0
	s_cselect_b32 s0, ttmp7, s1
	s_mov_b32 s3, 0
	v_lshl_add_u32 v1, s0, 6, v1
	s_mul_i32 s0, s20, s2
	v_dual_mov_b32 v11, v8 :: v_dual_add_nc_u32 v10, 8, v8
	s_mul_i32 s21, s2, s2
	s_delay_alu instid0(VALU_DEP_2)
	v_mul_lo_u32 v9, v1, s0
	v_mov_b32_e32 v1, 0
	s_lshl_b64 s[0:1], s[2:3], 2
	s_wait_kmcnt 0x0
	s_mov_b64 s[10:11], s[8:9]
	s_mov_b32 s22, s21
.LBB13_2:                               ; =>This Loop Header: Depth=1
                                        ;     Child Loop BB13_3 Depth 2
                                        ;       Child Loop BB13_4 Depth 3
	v_mov_b32_e32 v12, v8
	s_mul_i32 s23, s3, s2
	s_mov_b64 s[12:13], s[8:9]
	s_mov_b32 s24, s21
	s_mov_b32 s25, 0
.LBB13_3:                               ;   Parent Loop BB13_2 Depth=1
                                        ; =>  This Loop Header: Depth=2
                                        ;       Child Loop BB13_4 Depth 3
	s_delay_alu instid0(SALU_CYCLE_1)
	s_add_co_i32 s14, s25, s23
	v_mov_b32_e32 v13, v12
	s_wait_xcnt 0x1
	v_lshl_add_u32 v2, s14, 4, v9
	s_mov_b32 s26, 0
	s_mov_b64 s[14:15], s[10:11]
	s_mov_b64 s[16:17], s[12:13]
	s_mov_b32 s18, s24
	s_wait_xcnt 0x0
	v_dual_mov_b32 v5, v1 :: v_dual_add_nc_u32 v0, v10, v2
	v_add_nc_u32_e32 v4, v2, v8
	s_clause 0x1
	global_load_b32 v6, v0, s[6:7] scale_offset
	global_load_b32 v7, v4, s[6:7] scale_offset
	v_lshl_add_u64 v[2:3], v[0:1], 2, s[6:7]
	s_wait_xcnt 0x1
	v_mov_b32_e32 v0, v11
	s_wait_xcnt 0x0
	v_lshl_add_u64 v[4:5], v[4:5], 2, s[6:7]
.LBB13_4:                               ;   Parent Loop BB13_2 Depth=1
                                        ;     Parent Loop BB13_3 Depth=2
                                        ; =>    This Inner Loop Header: Depth=3
	s_delay_alu instid0(VALU_DEP_2)
	v_dual_add_nc_u32 v17, v9, v13 :: v_dual_add_nc_u32 v18, v9, v0
	s_wait_xcnt 0x0
	s_ashr_i32 s19, s18, 31
	v_add_nc_u32_e32 v0, 16, v0
	s_lshl_b64 s[34:35], s[18:19], 2
	v_add_nc_u32_e32 v19, 8, v17
	s_add_nc_u64 s[34:35], s[8:9], s[34:35]
	s_add_co_i32 s19, s22, s26
	s_clause 0x2
	global_load_b32 v14, v17, s[4:5] scale_offset
	global_load_b32 v16, v18, s[4:5] scale_offset
	;; [unrolled: 1-line block ×3, first 2 shown]
	s_wait_xcnt 0x2
	v_add_nc_u32_e32 v17, 8, v18
	s_load_b32 s30, s[16:17], 0x0
	s_load_b32 s31, s[34:35], 0x0
	;; [unrolled: 1-line block ×3, first 2 shown]
	s_add_co_i32 s26, s26, 1
	global_load_b32 v18, v17, s[4:5] scale_offset
	s_load_b32 s34, s[8:9], s19 offset:0x0 scale_offset
	s_add_co_i32 s18, s18, s2
	s_add_nc_u64 s[16:17], s[16:17], s[0:1]
	s_cmp_eq_u32 s2, s26
	s_add_nc_u64 s[14:15], s[14:15], 4
	v_add_nc_u32_e32 v13, s20, v13
	s_wait_kmcnt 0x0
	v_mov_b64_e32 v[20:21], s[30:31]
	s_wait_loadcnt 0x1
	v_dual_mov_b32 v25, v14 :: v_dual_mov_b32 v24, v15
	v_pk_fma_f32 v[22:23], s[28:29], v[14:15], v[6:7] op_sel_hi:[0,1,1]
	v_pk_fma_f32 v[6:7], s[28:29], v[14:15], v[6:7] op_sel_hi:[0,1,1] neg_lo:[1,0,0] neg_hi:[1,0,0]
	v_dual_mov_b32 v14, s31 :: v_dual_mov_b32 v15, s30
	s_delay_alu instid0(VALU_DEP_3) | instskip(NEXT) | instid1(VALU_DEP_3)
	v_pk_fma_f32 v[22:23], v[16:17], v[20:21], v[22:23] op_sel_hi:[0,1,1] neg_lo:[1,0,0] neg_hi:[1,0,0]
	v_pk_fma_f32 v[6:7], v[16:17], v[20:21], v[6:7] op_sel_hi:[0,1,1]
	s_delay_alu instid0(VALU_DEP_2) | instskip(NEXT) | instid1(VALU_DEP_1)
	v_mov_b32_e32 v7, v23
	v_pk_fma_f32 v[6:7], s[34:35], v[24:25], v[6:7] op_sel_hi:[0,1,1]
	s_wait_loadcnt 0x0
	s_delay_alu instid0(VALU_DEP_1)
	v_pk_fma_f32 v[6:7], v[18:19], v[14:15], v[6:7] op_sel_hi:[0,1,1] neg_lo:[1,0,0] neg_hi:[1,0,0]
	s_cbranch_scc0 .LBB13_4
; %bb.5:                                ;   in Loop: Header=BB13_3 Depth=2
	v_add_nc_u32_e32 v12, 16, v12
	s_add_co_i32 s25, s25, 1
	s_add_co_i32 s24, s24, 1
	s_add_nc_u64 s[12:13], s[12:13], 4
	s_cmp_eq_u32 s25, s2
	s_clause 0x1
	global_store_b32 v[2:3], v6, off
	global_store_b32 v[4:5], v7, off
	s_cbranch_scc0 .LBB13_3
; %bb.6:                                ;   in Loop: Header=BB13_2 Depth=1
	v_add_nc_u32_e32 v11, s20, v11
	s_add_co_i32 s3, s3, 1
	s_add_co_i32 s22, s22, s2
	s_cmp_eq_u32 s3, s2
	s_add_nc_u64 s[10:11], s[10:11], s[0:1]
	s_cbranch_scc0 .LBB13_2
.LBB13_7:
	s_endpgm
	.section	.rodata,"a",@progbits
	.p2align	6, 0x0
	.amdhsa_kernel _Z17comm_aosoa_directPK15HIP_vector_typeIfLj2EEPS0_S2_i
		.amdhsa_group_segment_fixed_size 0
		.amdhsa_private_segment_fixed_size 0
		.amdhsa_kernarg_size 28
		.amdhsa_user_sgpr_count 2
		.amdhsa_user_sgpr_dispatch_ptr 0
		.amdhsa_user_sgpr_queue_ptr 0
		.amdhsa_user_sgpr_kernarg_segment_ptr 1
		.amdhsa_user_sgpr_dispatch_id 0
		.amdhsa_user_sgpr_kernarg_preload_length 0
		.amdhsa_user_sgpr_kernarg_preload_offset 0
		.amdhsa_user_sgpr_private_segment_size 0
		.amdhsa_wavefront_size32 1
		.amdhsa_uses_dynamic_stack 0
		.amdhsa_enable_private_segment 0
		.amdhsa_system_sgpr_workgroup_id_x 1
		.amdhsa_system_sgpr_workgroup_id_y 1
		.amdhsa_system_sgpr_workgroup_id_z 0
		.amdhsa_system_sgpr_workgroup_info 0
		.amdhsa_system_vgpr_workitem_id 1
		.amdhsa_next_free_vgpr 26
		.amdhsa_next_free_sgpr 36
		.amdhsa_named_barrier_count 0
		.amdhsa_reserve_vcc 0
		.amdhsa_float_round_mode_32 0
		.amdhsa_float_round_mode_16_64 0
		.amdhsa_float_denorm_mode_32 3
		.amdhsa_float_denorm_mode_16_64 3
		.amdhsa_fp16_overflow 0
		.amdhsa_memory_ordered 1
		.amdhsa_forward_progress 1
		.amdhsa_inst_pref_size 5
		.amdhsa_round_robin_scheduling 0
		.amdhsa_exception_fp_ieee_invalid_op 0
		.amdhsa_exception_fp_denorm_src 0
		.amdhsa_exception_fp_ieee_div_zero 0
		.amdhsa_exception_fp_ieee_overflow 0
		.amdhsa_exception_fp_ieee_underflow 0
		.amdhsa_exception_fp_ieee_inexact 0
		.amdhsa_exception_int_div_zero 0
	.end_amdhsa_kernel
	.text
.Lfunc_end13:
	.size	_Z17comm_aosoa_directPK15HIP_vector_typeIfLj2EEPS0_S2_i, .Lfunc_end13-_Z17comm_aosoa_directPK15HIP_vector_typeIfLj2EEPS0_S2_i
                                        ; -- End function
	.set _Z17comm_aosoa_directPK15HIP_vector_typeIfLj2EEPS0_S2_i.num_vgpr, 26
	.set _Z17comm_aosoa_directPK15HIP_vector_typeIfLj2EEPS0_S2_i.num_agpr, 0
	.set _Z17comm_aosoa_directPK15HIP_vector_typeIfLj2EEPS0_S2_i.numbered_sgpr, 36
	.set _Z17comm_aosoa_directPK15HIP_vector_typeIfLj2EEPS0_S2_i.num_named_barrier, 0
	.set _Z17comm_aosoa_directPK15HIP_vector_typeIfLj2EEPS0_S2_i.private_seg_size, 0
	.set _Z17comm_aosoa_directPK15HIP_vector_typeIfLj2EEPS0_S2_i.uses_vcc, 0
	.set _Z17comm_aosoa_directPK15HIP_vector_typeIfLj2EEPS0_S2_i.uses_flat_scratch, 0
	.set _Z17comm_aosoa_directPK15HIP_vector_typeIfLj2EEPS0_S2_i.has_dyn_sized_stack, 0
	.set _Z17comm_aosoa_directPK15HIP_vector_typeIfLj2EEPS0_S2_i.has_recursion, 0
	.set _Z17comm_aosoa_directPK15HIP_vector_typeIfLj2EEPS0_S2_i.has_indirect_call, 0
	.section	.AMDGPU.csdata,"",@progbits
; Kernel info:
; codeLenInByte = 636
; TotalNumSgprs: 36
; NumVgprs: 26
; ScratchSize: 0
; MemoryBound: 0
; FloatMode: 240
; IeeeMode: 1
; LDSByteSize: 0 bytes/workgroup (compile time only)
; SGPRBlocks: 0
; VGPRBlocks: 1
; NumSGPRsForWavesPerEU: 36
; NumVGPRsForWavesPerEU: 26
; NamedBarCnt: 0
; Occupancy: 16
; WaveLimiterHint : 0
; COMPUTE_PGM_RSRC2:SCRATCH_EN: 0
; COMPUTE_PGM_RSRC2:USER_SGPR: 2
; COMPUTE_PGM_RSRC2:TRAP_HANDLER: 0
; COMPUTE_PGM_RSRC2:TGID_X_EN: 1
; COMPUTE_PGM_RSRC2:TGID_Y_EN: 1
; COMPUTE_PGM_RSRC2:TGID_Z_EN: 0
; COMPUTE_PGM_RSRC2:TIDIG_COMP_CNT: 1
	.text
	.protected	_Z27comm_aosoa_constants_directPK15HIP_vector_typeIfLj2EEPS0_S2_ ; -- Begin function _Z27comm_aosoa_constants_directPK15HIP_vector_typeIfLj2EEPS0_S2_
	.globl	_Z27comm_aosoa_constants_directPK15HIP_vector_typeIfLj2EEPS0_S2_
	.p2align	8
	.type	_Z27comm_aosoa_constants_directPK15HIP_vector_typeIfLj2EEPS0_S2_,@function
_Z27comm_aosoa_constants_directPK15HIP_vector_typeIfLj2EEPS0_S2_: ; @_Z27comm_aosoa_constants_directPK15HIP_vector_typeIfLj2EEPS0_S2_
; %bb.0:
	s_bfe_u32 s2, ttmp6, 0x40010
	s_bfe_u32 s3, ttmp6, 0x40004
	s_add_co_i32 s2, s2, 1
	s_getreg_b32 s4, hwreg(HW_REG_IB_STS2, 6, 4)
	s_mul_i32 s2, ttmp7, s2
	v_bfe_u32 v2, v0, 10, 10
	s_add_co_i32 s3, s3, s2
	s_cmp_eq_u32 s4, 0
	s_clause 0x1
	s_load_b128 s[4:7], s[0:1], 0x0
	s_load_b64 s[20:21], s[0:1], 0x10
	v_and_b32_e32 v0, 0x3ff, v0
	s_cselect_b32 s2, ttmp7, s3
	s_mov_b64 s[22:23], 0xfffffffffffffe94
	s_mul_i32 s3, s2, 0xc400
	v_lshl_add_u32 v1, s2, 6, v2
	v_or_b32_e32 v3, s3, v0
	s_mov_b64 s[24:25], 0xffffffffffffff58
	s_mov_b64 s[26:27], 0xfffffffffffffeb0
	;; [unrolled: 1-line block ×3, first 2 shown]
	v_mul_lo_u32 v1, 0x310, v1
	v_mad_u32_u24 v2, 0x310, v2, v3
	v_add_nc_u32_e32 v3, 8, v0
	s_mov_b64 s[30:31], 0xfffffffffffffecc
	s_mov_b64 s[34:35], 0xffffffffffffff90
	;; [unrolled: 1-line block ×3, first 2 shown]
	v_mov_b32_e32 v4, v2
	s_mov_b64 s[38:39], 0xffffffffffffffac
	s_mov_b64 s[40:41], 0xffffffffffffff04
	;; [unrolled: 1-line block ×6, first 2 shown]
	s_mov_b32 s15, 0
	s_wait_kmcnt 0x0
	s_add_nc_u64 s[50:51], s[20:21], 0x16c
	s_mov_b32 s19, 0
.LBB14_1:                               ; =>This Loop Header: Depth=1
                                        ;     Child Loop BB14_2 Depth 2
	s_delay_alu instid0(SALU_CYCLE_1) | instskip(SKIP_3) | instid1(SALU_CYCLE_1)
	v_mad_u32 v5, 0x70, s19, v1
	s_mul_i32 s14, s19, 7
	s_mov_b32 s33, 0
	s_lshl_b32 s0, s14, 4
	v_add3_u32 v7, s0, 32, v1
	v_add3_u32 v6, s0, 16, v1
	;; [unrolled: 1-line block ×5, first 2 shown]
	v_dual_add_nc_u32 v17, v7, v0 :: v_dual_add_nc_u32 v18, v5, v0
	s_wait_xcnt 0x0
	v_dual_add_nc_u32 v19, v3, v5 :: v_dual_add_nc_u32 v20, v3, v7
	v_dual_add_nc_u32 v15, v6, v0 :: v_dual_add_nc_u32 v16, v3, v6
	v_add_nc_u32_e32 v21, v8, v0
	v_add_nc_u32_e32 v22, v3, v8
	s_clause 0x7
	global_load_b32 v5, v18, s[4:5] scale_offset
	global_load_b32 v6, v19, s[4:5] scale_offset
	;; [unrolled: 1-line block ×8, first 2 shown]
	s_wait_xcnt 0x5
	v_add3_u32 v15, 0x60, s0, v1
	s_wait_xcnt 0x2
	v_dual_add_nc_u32 v19, v13, v0 :: v_dual_add_nc_u32 v20, v3, v13
	s_wait_xcnt 0x0
	v_dual_add_nc_u32 v21, v14, v0 :: v_dual_add_nc_u32 v22, v3, v14
	v_add_nc_u32_e32 v23, v15, v0
	v_add_nc_u32_e32 v24, v3, v15
	s_clause 0x5
	global_load_b32 v13, v19, s[4:5] scale_offset
	global_load_b32 v14, v20, s[4:5] scale_offset
	;; [unrolled: 1-line block ×6, first 2 shown]
	s_lshl_b64 s[0:1], s[14:15], 2
	s_delay_alu instid0(SALU_CYCLE_1)
	s_add_nc_u64 s[52:53], s[20:21], s[0:1]
	s_clause 0x3
	s_load_b128 s[0:3], s[52:53], 0x0
	s_load_b96 s[12:14], s[52:53], 0x10
	s_load_b128 s[8:11], s[52:53], 0xc4
	s_load_b96 s[16:18], s[52:53], 0xd4
	s_wait_xcnt 0x0
	s_mov_b64 s[52:53], s[50:51]
.LBB14_2:                               ;   Parent Loop BB14_1 Depth=1
                                        ; =>  This Inner Loop Header: Depth=2
	s_wait_xcnt 0x0
	v_dual_add_nc_u32 v19, s33, v4 :: v_dual_add_nc_u32 v20, s33, v2
	s_add_nc_u64 s[54:55], s[52:53], s[22:23]
	s_add_nc_u64 s[56:57], s[52:53], s[24:25]
	s_add_co_i32 s33, s33, 16
	s_delay_alu instid0(VALU_DEP_1)
	v_dual_add_nc_u32 v21, 8, v19 :: v_dual_add_nc_u32 v22, 8, v20
	v_add_nc_u32_e32 v31, 0x158, v20
	v_add_nc_u32_e32 v35, 0x238, v20
	global_load_b32 v23, v20, s[4:5] scale_offset
	s_clause 0x1
	global_load_b32 v24, v21, s[6:7] scale_offset
	global_load_b32 v25, v19, s[6:7] scale_offset
	;; [unrolled: 1-line block ×3, first 2 shown]
	v_add_nc_u32_e32 v26, 0x70, v20
	v_add_nc_u32_e32 v28, 0xe0, v20
	;; [unrolled: 1-line block ×3, first 2 shown]
	s_cmp_lg_u32 s33, 0x70
	s_wait_loadcnt 0x2
	s_wait_kmcnt 0x0
	v_fma_f32 v24, -s0, v23, v24
	v_add_nc_u32_e32 v27, 0x78, v20
	s_wait_loadcnt 0x0
	v_fmac_f32_e32 v25, s0, v22
	s_clause 0x3
	global_load_b32 v26, v26, s[4:5] scale_offset
	global_load_b32 v27, v27, s[4:5] scale_offset
	;; [unrolled: 1-line block ×4, first 2 shown]
	v_add_nc_u32_e32 v30, 0x150, v20
	v_add_nc_u32_e32 v32, 0x1c0, v20
	s_clause 0x1
	global_load_b32 v30, v30, s[4:5] scale_offset
	global_load_b32 v31, v31, s[4:5] scale_offset
	v_add_nc_u32_e32 v33, 0x1c8, v20
	s_clause 0x1
	global_load_b32 v32, v32, s[4:5] scale_offset
	global_load_b32 v33, v33, s[4:5] scale_offset
	;; [unrolled: 4-line block ×3, first 2 shown]
	v_add_nc_u32_e32 v36, 0x2a0, v20
	s_wait_xcnt 0xd
	v_add_nc_u32_e32 v20, 0x2a8, v20
	s_clause 0x1
	global_load_b32 v36, v36, s[4:5] scale_offset
	global_load_b32 v20, v20, s[4:5] scale_offset
	s_clause 0x1
	s_load_b32 s58, s[54:55], 0x0
	s_load_b32 s59, s[56:57], 0x0
	s_wait_xcnt 0x0
	s_add_nc_u64 s[54:55], s[52:53], s[26:27]
	s_add_nc_u64 s[56:57], s[52:53], s[28:29]
	s_clause 0x1
	s_load_b32 s60, s[54:55], 0x0
	s_load_b32 s61, s[56:57], 0x0
	s_wait_xcnt 0x0
	s_add_nc_u64 s[54:55], s[52:53], s[30:31]
	s_add_nc_u64 s[56:57], s[52:53], s[34:35]
	s_wait_kmcnt 0x0
	v_fma_f32 v25, -v5, s59, v25
	s_delay_alu instid0(VALU_DEP_1) | instskip(NEXT) | instid1(VALU_DEP_1)
	v_fmac_f32_e32 v25, s8, v23
	v_dual_fma_f32 v23, -s58, v6, v25 :: v_dual_fmac_f32 v24, s58, v5
	s_delay_alu instid0(VALU_DEP_1) | instskip(NEXT) | instid1(VALU_DEP_1)
	v_fmac_f32_e32 v24, s8, v22
	v_fma_f32 v22, -v6, s59, v24
	s_clause 0x1
	s_load_b32 s58, s[54:55], 0x0
	s_load_b32 s59, s[56:57], 0x0
	s_wait_xcnt 0x0
	s_add_nc_u64 s[54:55], s[52:53], s[36:37]
	s_add_nc_u64 s[56:57], s[52:53], s[38:39]
	s_wait_loadcnt 0xa
	v_fmac_f32_e32 v23, s1, v27
	s_delay_alu instid0(VALU_DEP_1) | instskip(NEXT) | instid1(VALU_DEP_1)
	v_fma_f32 v23, -v7, s61, v23
	v_dual_fmac_f32 v23, s9, v26 :: v_dual_fma_f32 v22, -s1, v26, v22
	s_delay_alu instid0(VALU_DEP_1) | instskip(SKIP_1) | instid1(VALU_DEP_1)
	v_dual_fma_f32 v23, -s60, v8, v23 :: v_dual_fmac_f32 v22, s60, v7
	s_wait_loadcnt 0x8
	v_dual_fmac_f32 v23, s2, v29 :: v_dual_fmac_f32 v22, s9, v27
	s_wait_kmcnt 0x0
	s_delay_alu instid0(VALU_DEP_1) | instskip(NEXT) | instid1(VALU_DEP_2)
	v_fma_f32 v23, -v9, s59, v23
	v_fma_f32 v22, -v8, s61, v22
	s_clause 0x1
	s_load_b32 s60, s[54:55], 0x0
	s_load_b32 s61, s[56:57], 0x0
	s_wait_xcnt 0x0
	s_add_nc_u64 s[54:55], s[52:53], s[40:41]
	s_add_nc_u64 s[56:57], s[52:53], s[42:43]
	v_dual_fmac_f32 v23, s10, v28 :: v_dual_fma_f32 v22, -s2, v28, v22
	s_delay_alu instid0(VALU_DEP_1) | instskip(SKIP_1) | instid1(VALU_DEP_1)
	v_dual_fma_f32 v23, -s58, v10, v23 :: v_dual_fmac_f32 v22, s58, v9
	s_wait_loadcnt 0x6
	v_dual_fmac_f32 v23, s3, v31 :: v_dual_fmac_f32 v22, s10, v29
	s_delay_alu instid0(VALU_DEP_1)
	v_fma_f32 v22, -v10, s59, v22
	s_clause 0x1
	s_load_b32 s58, s[54:55], 0x0
	s_load_b32 s59, s[56:57], 0x0
	s_wait_xcnt 0x0
	s_add_nc_u64 s[54:55], s[52:53], s[44:45]
	s_wait_kmcnt 0x0
	v_fma_f32 v23, -v11, s61, v23
	s_add_nc_u64 s[56:57], s[52:53], s[46:47]
	s_delay_alu instid0(VALU_DEP_1) | instskip(NEXT) | instid1(VALU_DEP_1)
	v_dual_fmac_f32 v23, s11, v30 :: v_dual_fma_f32 v22, -s3, v30, v22
	v_dual_fma_f32 v23, -s60, v12, v23 :: v_dual_fmac_f32 v22, s60, v11
	s_clause 0x1
	s_load_b32 s60, s[54:55], 0x0
	s_nop 0
	s_load_b32 s56, s[56:57], 0x0
	s_wait_xcnt 0x0
	s_add_nc_u64 s[54:55], s[52:53], s[48:49]
	s_clause 0x1
	s_load_b32 s57, s[52:53], 0x0
	s_nop 0
	s_load_b32 s54, s[54:55], 0x0
	s_wait_loadcnt 0x4
	v_fmac_f32_e32 v23, s12, v33
	s_wait_xcnt 0x0
	s_add_nc_u64 s[52:53], s[52:53], 4
	s_delay_alu instid0(VALU_DEP_1) | instskip(NEXT) | instid1(VALU_DEP_1)
	v_fma_f32 v23, -v13, s59, v23
	v_dual_fmac_f32 v22, s11, v31 :: v_dual_fmac_f32 v23, s16, v32
	s_delay_alu instid0(VALU_DEP_1) | instskip(NEXT) | instid1(VALU_DEP_1)
	v_fma_f32 v22, -v12, s61, v22
	v_dual_fma_f32 v23, -s58, v14, v23 :: v_dual_fma_f32 v22, -s12, v32, v22
	s_wait_loadcnt 0x2
	s_delay_alu instid0(VALU_DEP_1) | instskip(SKIP_1) | instid1(VALU_DEP_1)
	v_dual_fmac_f32 v23, s13, v35 :: v_dual_fmac_f32 v22, s58, v13
	s_wait_kmcnt 0x0
	v_fma_f32 v23, -v15, s56, v23
	s_delay_alu instid0(VALU_DEP_1) | instskip(NEXT) | instid1(VALU_DEP_1)
	v_dual_fmac_f32 v22, s16, v33 :: v_dual_fmac_f32 v23, s17, v34
	v_fma_f32 v22, -v14, s59, v22
	s_delay_alu instid0(VALU_DEP_1) | instskip(SKIP_1) | instid1(VALU_DEP_1)
	v_dual_fma_f32 v23, -s60, v16, v23 :: v_dual_fma_f32 v22, -s13, v34, v22
	s_wait_loadcnt 0x0
	v_dual_fmac_f32 v23, s14, v20 :: v_dual_fmac_f32 v22, s60, v15
	s_delay_alu instid0(VALU_DEP_1) | instskip(NEXT) | instid1(VALU_DEP_1)
	v_fma_f32 v23, -v17, s57, v23
	v_dual_fmac_f32 v22, s17, v35 :: v_dual_fmac_f32 v23, s18, v36
	s_delay_alu instid0(VALU_DEP_1) | instskip(NEXT) | instid1(VALU_DEP_1)
	v_fma_f32 v22, -v16, s56, v22
	v_fma_f32 v22, -s14, v36, v22
	s_delay_alu instid0(VALU_DEP_1) | instskip(NEXT) | instid1(VALU_DEP_1)
	v_fmac_f32_e32 v22, s54, v17
	v_fmac_f32_e32 v22, s18, v20
	s_delay_alu instid0(VALU_DEP_1)
	v_fma_f32 v20, -v18, s57, v22
	v_fma_f32 v22, -s54, v18, v23
	s_clause 0x1
	global_store_b32 v21, v20, s[6:7] scale_offset
	global_store_b32 v19, v22, s[6:7] scale_offset
	s_cbranch_scc1 .LBB14_2
; %bb.3:                                ;   in Loop: Header=BB14_1 Depth=1
	v_add_nc_u32_e32 v4, 0x70, v4
	s_add_co_i32 s19, s19, 1
	s_delay_alu instid0(SALU_CYCLE_1)
	s_cmp_eq_u32 s19, 7
	s_cbranch_scc0 .LBB14_1
; %bb.4:
	s_endpgm
	.section	.rodata,"a",@progbits
	.p2align	6, 0x0
	.amdhsa_kernel _Z27comm_aosoa_constants_directPK15HIP_vector_typeIfLj2EEPS0_S2_
		.amdhsa_group_segment_fixed_size 0
		.amdhsa_private_segment_fixed_size 0
		.amdhsa_kernarg_size 24
		.amdhsa_user_sgpr_count 2
		.amdhsa_user_sgpr_dispatch_ptr 0
		.amdhsa_user_sgpr_queue_ptr 0
		.amdhsa_user_sgpr_kernarg_segment_ptr 1
		.amdhsa_user_sgpr_dispatch_id 0
		.amdhsa_user_sgpr_kernarg_preload_length 0
		.amdhsa_user_sgpr_kernarg_preload_offset 0
		.amdhsa_user_sgpr_private_segment_size 0
		.amdhsa_wavefront_size32 1
		.amdhsa_uses_dynamic_stack 0
		.amdhsa_enable_private_segment 0
		.amdhsa_system_sgpr_workgroup_id_x 1
		.amdhsa_system_sgpr_workgroup_id_y 1
		.amdhsa_system_sgpr_workgroup_id_z 0
		.amdhsa_system_sgpr_workgroup_info 0
		.amdhsa_system_vgpr_workitem_id 1
		.amdhsa_next_free_vgpr 37
		.amdhsa_next_free_sgpr 62
		.amdhsa_named_barrier_count 0
		.amdhsa_reserve_vcc 0
		.amdhsa_float_round_mode_32 0
		.amdhsa_float_round_mode_16_64 0
		.amdhsa_float_denorm_mode_32 3
		.amdhsa_float_denorm_mode_16_64 3
		.amdhsa_fp16_overflow 0
		.amdhsa_memory_ordered 1
		.amdhsa_forward_progress 1
		.amdhsa_inst_pref_size 14
		.amdhsa_round_robin_scheduling 0
		.amdhsa_exception_fp_ieee_invalid_op 0
		.amdhsa_exception_fp_denorm_src 0
		.amdhsa_exception_fp_ieee_div_zero 0
		.amdhsa_exception_fp_ieee_overflow 0
		.amdhsa_exception_fp_ieee_underflow 0
		.amdhsa_exception_fp_ieee_inexact 0
		.amdhsa_exception_int_div_zero 0
	.end_amdhsa_kernel
	.text
.Lfunc_end14:
	.size	_Z27comm_aosoa_constants_directPK15HIP_vector_typeIfLj2EEPS0_S2_, .Lfunc_end14-_Z27comm_aosoa_constants_directPK15HIP_vector_typeIfLj2EEPS0_S2_
                                        ; -- End function
	.set _Z27comm_aosoa_constants_directPK15HIP_vector_typeIfLj2EEPS0_S2_.num_vgpr, 37
	.set _Z27comm_aosoa_constants_directPK15HIP_vector_typeIfLj2EEPS0_S2_.num_agpr, 0
	.set _Z27comm_aosoa_constants_directPK15HIP_vector_typeIfLj2EEPS0_S2_.numbered_sgpr, 62
	.set _Z27comm_aosoa_constants_directPK15HIP_vector_typeIfLj2EEPS0_S2_.num_named_barrier, 0
	.set _Z27comm_aosoa_constants_directPK15HIP_vector_typeIfLj2EEPS0_S2_.private_seg_size, 0
	.set _Z27comm_aosoa_constants_directPK15HIP_vector_typeIfLj2EEPS0_S2_.uses_vcc, 0
	.set _Z27comm_aosoa_constants_directPK15HIP_vector_typeIfLj2EEPS0_S2_.uses_flat_scratch, 0
	.set _Z27comm_aosoa_constants_directPK15HIP_vector_typeIfLj2EEPS0_S2_.has_dyn_sized_stack, 0
	.set _Z27comm_aosoa_constants_directPK15HIP_vector_typeIfLj2EEPS0_S2_.has_recursion, 0
	.set _Z27comm_aosoa_constants_directPK15HIP_vector_typeIfLj2EEPS0_S2_.has_indirect_call, 0
	.section	.AMDGPU.csdata,"",@progbits
; Kernel info:
; codeLenInByte = 1760
; TotalNumSgprs: 62
; NumVgprs: 37
; ScratchSize: 0
; MemoryBound: 0
; FloatMode: 240
; IeeeMode: 1
; LDSByteSize: 0 bytes/workgroup (compile time only)
; SGPRBlocks: 0
; VGPRBlocks: 2
; NumSGPRsForWavesPerEU: 62
; NumVGPRsForWavesPerEU: 37
; NamedBarCnt: 0
; Occupancy: 16
; WaveLimiterHint : 0
; COMPUTE_PGM_RSRC2:SCRATCH_EN: 0
; COMPUTE_PGM_RSRC2:USER_SGPR: 2
; COMPUTE_PGM_RSRC2:TRAP_HANDLER: 0
; COMPUTE_PGM_RSRC2:TGID_X_EN: 1
; COMPUTE_PGM_RSRC2:TGID_Y_EN: 1
; COMPUTE_PGM_RSRC2:TGID_Z_EN: 0
; COMPUTE_PGM_RSRC2:TIDIG_COMP_CNT: 1
	.text
	.protected	_Z32comm_aosoa_constants_direct_permPK15HIP_vector_typeIfLj2EEPS0_S2_ ; -- Begin function _Z32comm_aosoa_constants_direct_permPK15HIP_vector_typeIfLj2EEPS0_S2_
	.globl	_Z32comm_aosoa_constants_direct_permPK15HIP_vector_typeIfLj2EEPS0_S2_
	.p2align	8
	.type	_Z32comm_aosoa_constants_direct_permPK15HIP_vector_typeIfLj2EEPS0_S2_,@function
_Z32comm_aosoa_constants_direct_permPK15HIP_vector_typeIfLj2EEPS0_S2_: ; @_Z32comm_aosoa_constants_direct_permPK15HIP_vector_typeIfLj2EEPS0_S2_
; %bb.0:
	s_bfe_u32 s2, ttmp6, 0x40010
	s_bfe_u32 s3, ttmp6, 0x40004
	s_add_co_i32 s2, s2, 1
	s_getreg_b32 s4, hwreg(HW_REG_IB_STS2, 6, 4)
	s_mul_i32 s2, ttmp7, s2
	v_bfe_u32 v1, v0, 10, 10
	s_add_co_i32 s3, s3, s2
	s_cmp_eq_u32 s4, 0
	s_clause 0x1
	s_load_b128 s[4:7], s[0:1], 0x0
	s_load_b64 s[20:21], s[0:1], 0x10
	s_wait_xcnt 0x0
	s_cselect_b32 s0, ttmp7, s3
	v_and_b32_e32 v30, 0x3ff, v0
	v_lshl_add_u32 v0, s0, 6, v1
	s_mul_i32 s0, s0, 0xc400
	v_mul_u32_u24_e32 v33, 0x310, v1
	s_mov_b64 s[22:23], 0xc4
	v_dual_add_nc_u32 v31, 8, v30 :: v_dual_bitop2_b32 v34, s0, v30 bitop3:0x54
	v_mul_lo_u32 v32, 0x310, v0
	v_mov_b32_e32 v1, 0
	s_mov_b64 s[24:25], 0xffffffffffffff3c
	s_mov_b32 s15, 0
	v_mov_b32_e32 v35, v34
.LBB15_1:                               ; =>This Loop Header: Depth=1
                                        ;     Child Loop BB15_2 Depth 2
	s_delay_alu instid0(VALU_DEP_3) | instskip(SKIP_2) | instid1(VALU_DEP_2)
	v_mad_u32 v24, 0x70, s15, v32
	s_mov_b64 s[26:27], 0
	s_mov_b64 s[28:29], s[22:23]
	v_mov_b32_e32 v36, v35
	s_delay_alu instid0(VALU_DEP_2) | instskip(SKIP_3) | instid1(VALU_DEP_3)
	v_dual_add_nc_u32 v0, v31, v24 :: v_dual_add_nc_u32 v8, 16, v24
	v_dual_add_nc_u32 v12, 32, v24 :: v_dual_add_nc_u32 v16, 48, v24
	v_add_nc_u32_e32 v20, 64, v24
	s_wait_kmcnt 0x0
	v_lshl_add_u64 v[2:3], v[0:1], 2, s[6:7]
	v_add_nc_u32_e32 v0, v24, v30
	v_add_nc_u32_e32 v25, 0x50, v24
	s_wait_xcnt 0x0
	v_add_nc_u32_e32 v28, 0x60, v24
	s_delay_alu instid0(VALU_DEP_3) | instskip(SKIP_1) | instid1(VALU_DEP_1)
	v_lshl_add_u64 v[4:5], v[0:1], 2, s[6:7]
	v_add_nc_u32_e32 v0, v31, v8
	v_lshl_add_u64 v[6:7], v[0:1], 2, s[6:7]
	v_add_nc_u32_e32 v0, v8, v30
	s_delay_alu instid0(VALU_DEP_1) | instskip(SKIP_1) | instid1(VALU_DEP_1)
	v_lshl_add_u64 v[8:9], v[0:1], 2, s[6:7]
	v_add_nc_u32_e32 v0, v31, v12
	v_lshl_add_u64 v[10:11], v[0:1], 2, s[6:7]
	v_add_nc_u32_e32 v0, v12, v30
	s_delay_alu instid0(VALU_DEP_1) | instskip(SKIP_1) | instid1(VALU_DEP_1)
	;; [unrolled: 5-line block ×5, first 2 shown]
	v_lshl_add_u64 v[24:25], v[0:1], 2, s[6:7]
	v_add_nc_u32_e32 v0, v31, v28
	v_lshl_add_u64 v[26:27], v[0:1], 2, s[6:7]
	v_add_nc_u32_e32 v0, v28, v30
	s_delay_alu instid0(VALU_DEP_1)
	v_lshl_add_u64 v[28:29], v[0:1], 2, s[6:7]
	v_mov_b32_e32 v0, v34
.LBB15_2:                               ;   Parent Loop BB15_1 Depth=1
                                        ; =>  This Inner Loop Header: Depth=2
	s_wait_xcnt 0x0
	v_add_nc_u32_e32 v38, v33, v36
	s_delay_alu instid0(VALU_DEP_2)
	v_add_nc_u32_e32 v37, v33, v0
	s_clause 0x1
	global_load_b32 v39, v[2:3], off
	global_load_b32 v40, v[4:5], off
	s_add_nc_u64 s[34:35], s[20:21], s[28:29]
	s_add_nc_u64 s[36:37], s[20:21], s[26:27]
	v_dual_add_nc_u32 v42, 8, v38 :: v_dual_add_nc_u32 v41, 8, v37
	s_add_nc_u64 s[38:39], s[34:35], s[24:25]
	s_clause 0x3
	global_load_b32 v43, v38, s[4:5] scale_offset
	global_load_b32 v44, v37, s[4:5] scale_offset
	;; [unrolled: 1-line block ×4, first 2 shown]
	s_clause 0x5
	s_load_b128 s[0:3], s[36:37], 0x0
	s_load_b96 s[12:14], s[36:37], 0x10
	s_load_b96 s[16:18], s[36:37], 0xd4
	s_load_b128 s[8:11], s[36:37], 0xc4
	s_load_b32 s30, s[38:39], 0x0
	s_load_b32 s19, s[34:35], 0x0
	v_dual_add_nc_u32 v38, 16, v37 :: v_dual_add_nc_u32 v41, 24, v37
	v_dual_add_nc_u32 v42, 32, v37 :: v_dual_add_nc_u32 v47, 40, v37
	;; [unrolled: 1-line block ×3, first 2 shown]
	v_add_nc_u32_e32 v50, 64, v37
	s_clause 0x6
	global_load_b32 v51, v38, s[4:5] scale_offset
	global_load_b32 v52, v41, s[4:5] scale_offset
	;; [unrolled: 1-line block ×7, first 2 shown]
	v_add_nc_u32_e32 v36, 16, v36
	s_add_nc_u64 s[26:27], s[26:27], 28
	s_add_nc_u64 s[28:29], s[28:29], 4
	s_cmp_eq_u32 s26, 0xc4
	s_wait_xcnt 0x5
	v_add_nc_u32_e32 v41, 0x50, v37
	v_add_nc_u32_e32 v0, 0x70, v0
	s_wait_loadcnt 0x8
	s_wait_kmcnt 0x0
	v_dual_fma_f32 v38, -s30, v44, v39 :: v_dual_fmac_f32 v40, s30, v45
	s_delay_alu instid0(VALU_DEP_1) | instskip(NEXT) | instid1(VALU_DEP_2)
	v_fmac_f32_e32 v38, s0, v43
	v_fma_f32 v39, -v43, s8, v40
	v_add_nc_u32_e32 v40, 0x48, v37
	s_delay_alu instid0(VALU_DEP_2) | instskip(SKIP_2) | instid1(VALU_DEP_2)
	v_dual_fmac_f32 v38, s19, v45 :: v_dual_fmac_f32 v39, s19, v44
	v_add_nc_u32_e32 v44, 0x60, v37
	s_wait_loadcnt 0x7
	v_fma_f32 v38, -v46, s8, v38
	s_delay_alu instid0(VALU_DEP_3)
	v_fma_f32 v39, -v46, s0, v39
	s_clause 0x3
	global_store_b32 v[2:3], v38, off
	global_store_b32 v[4:5], v39, off
	global_load_b32 v38, v[6:7], off
	global_load_b32 v39, v[8:9], off
	s_wait_loadcnt 0x0
	v_dual_fma_f32 v38, -s30, v51, v38 :: v_dual_fmac_f32 v39, s30, v52
	s_delay_alu instid0(VALU_DEP_1) | instskip(NEXT) | instid1(VALU_DEP_2)
	v_fmac_f32_e32 v38, s1, v43
	v_fma_f32 v39, -v43, s9, v39
	s_delay_alu instid0(VALU_DEP_1) | instskip(NEXT) | instid1(VALU_DEP_1)
	v_dual_fmac_f32 v38, s19, v52 :: v_dual_fmac_f32 v39, s19, v51
	v_fma_f32 v38, -v46, s9, v38
	s_delay_alu instid0(VALU_DEP_2)
	v_fma_f32 v39, -v46, s1, v39
	s_clause 0x3
	global_store_b32 v[6:7], v38, off
	global_store_b32 v[8:9], v39, off
	global_load_b32 v38, v[10:11], off
	global_load_b32 v39, v[12:13], off
	s_wait_loadcnt 0x0
	v_fmac_f32_e32 v39, s30, v54
	s_delay_alu instid0(VALU_DEP_1) | instskip(NEXT) | instid1(VALU_DEP_1)
	v_fma_f32 v39, -v43, s10, v39
	v_dual_fma_f32 v38, -s30, v53, v38 :: v_dual_fmac_f32 v39, s19, v53
	s_delay_alu instid0(VALU_DEP_1) | instskip(NEXT) | instid1(VALU_DEP_2)
	v_fmac_f32_e32 v38, s2, v43
	v_fma_f32 v39, -v46, s2, v39
	s_delay_alu instid0(VALU_DEP_2) | instskip(NEXT) | instid1(VALU_DEP_1)
	v_fmac_f32_e32 v38, s19, v54
	v_fma_f32 v38, -v46, s10, v38
	s_clause 0x3
	global_store_b32 v[10:11], v38, off
	global_store_b32 v[12:13], v39, off
	global_load_b32 v38, v[14:15], off
	global_load_b32 v39, v[16:17], off
	global_load_b32 v40, v40, s[4:5] scale_offset
	v_add_nc_u32_e32 v42, 0x58, v37
	v_add_nc_u32_e32 v37, 0x68, v37
	s_wait_loadcnt 0x1
	v_dual_fma_f32 v38, -s30, v55, v38 :: v_dual_fmac_f32 v39, s30, v56
	s_delay_alu instid0(VALU_DEP_1) | instskip(NEXT) | instid1(VALU_DEP_2)
	v_fmac_f32_e32 v38, s3, v43
	v_fma_f32 v39, -v43, s11, v39
	s_delay_alu instid0(VALU_DEP_1) | instskip(NEXT) | instid1(VALU_DEP_1)
	v_dual_fmac_f32 v38, s19, v56 :: v_dual_fmac_f32 v39, s19, v55
	v_fma_f32 v38, -v46, s11, v38
	s_delay_alu instid0(VALU_DEP_2)
	v_fma_f32 v39, -v46, s3, v39
	s_clause 0x3
	global_store_b32 v[14:15], v38, off
	global_store_b32 v[16:17], v39, off
	global_load_b32 v38, v[18:19], off
	global_load_b32 v39, v[20:21], off
	s_clause 0x3
	global_load_b32 v45, v41, s[4:5] scale_offset
	global_load_b32 v47, v42, s[4:5] scale_offset
	;; [unrolled: 1-line block ×4, first 2 shown]
	s_wait_loadcnt 0x4
	s_wait_xcnt 0x0
	v_dual_fma_f32 v37, -s30, v57, v38 :: v_dual_fmac_f32 v39, s30, v40
	s_delay_alu instid0(VALU_DEP_1) | instskip(NEXT) | instid1(VALU_DEP_1)
	v_fma_f32 v38, -v43, s16, v39
	v_dual_fmac_f32 v38, s19, v57 :: v_dual_fmac_f32 v37, s12, v43
	s_delay_alu instid0(VALU_DEP_1) | instskip(NEXT) | instid1(VALU_DEP_2)
	v_fma_f32 v38, -v46, s12, v38
	v_fmac_f32_e32 v37, s19, v40
	s_delay_alu instid0(VALU_DEP_1)
	v_fma_f32 v37, -v46, s16, v37
	s_clause 0x3
	global_store_b32 v[18:19], v37, off
	global_store_b32 v[20:21], v38, off
	global_load_b32 v37, v[22:23], off
	global_load_b32 v38, v[24:25], off
	s_wait_loadcnt 0x0
	v_dual_fma_f32 v37, -s30, v45, v37 :: v_dual_fmac_f32 v38, s30, v47
	s_delay_alu instid0(VALU_DEP_1) | instskip(NEXT) | instid1(VALU_DEP_2)
	v_fmac_f32_e32 v37, s13, v43
	v_fma_f32 v38, -v43, s17, v38
	s_delay_alu instid0(VALU_DEP_1) | instskip(NEXT) | instid1(VALU_DEP_1)
	v_dual_fmac_f32 v37, s19, v47 :: v_dual_fmac_f32 v38, s19, v45
	v_fma_f32 v37, -v46, s17, v37
	s_delay_alu instid0(VALU_DEP_2)
	v_fma_f32 v38, -v46, s13, v38
	s_clause 0x3
	global_store_b32 v[22:23], v37, off
	global_store_b32 v[24:25], v38, off
	global_load_b32 v37, v[26:27], off
	global_load_b32 v38, v[28:29], off
	s_wait_loadcnt 0x0
	v_dual_fma_f32 v37, -s30, v48, v37 :: v_dual_fmac_f32 v38, s30, v49
	s_delay_alu instid0(VALU_DEP_1) | instskip(NEXT) | instid1(VALU_DEP_1)
	v_fma_f32 v38, -v43, s18, v38
	v_dual_fmac_f32 v37, s14, v43 :: v_dual_fmac_f32 v38, s19, v48
	s_delay_alu instid0(VALU_DEP_1) | instskip(NEXT) | instid1(VALU_DEP_2)
	v_fmac_f32_e32 v37, s19, v49
	v_fma_f32 v38, -v46, s14, v38
	s_delay_alu instid0(VALU_DEP_2)
	v_fma_f32 v37, -v46, s18, v37
	s_clause 0x1
	global_store_b32 v[26:27], v37, off
	global_store_b32 v[28:29], v38, off
	s_cbranch_scc0 .LBB15_2
; %bb.3:                                ;   in Loop: Header=BB15_1 Depth=1
	v_add_nc_u32_e32 v35, 0x70, v35
	s_add_co_i32 s15, s15, 1
	s_add_nc_u64 s[22:23], s[22:23], 28
	s_cmp_eq_u32 s15, 7
	s_cbranch_scc0 .LBB15_1
; %bb.4:
	s_endpgm
	.section	.rodata,"a",@progbits
	.p2align	6, 0x0
	.amdhsa_kernel _Z32comm_aosoa_constants_direct_permPK15HIP_vector_typeIfLj2EEPS0_S2_
		.amdhsa_group_segment_fixed_size 0
		.amdhsa_private_segment_fixed_size 0
		.amdhsa_kernarg_size 24
		.amdhsa_user_sgpr_count 2
		.amdhsa_user_sgpr_dispatch_ptr 0
		.amdhsa_user_sgpr_queue_ptr 0
		.amdhsa_user_sgpr_kernarg_segment_ptr 1
		.amdhsa_user_sgpr_dispatch_id 0
		.amdhsa_user_sgpr_kernarg_preload_length 0
		.amdhsa_user_sgpr_kernarg_preload_offset 0
		.amdhsa_user_sgpr_private_segment_size 0
		.amdhsa_wavefront_size32 1
		.amdhsa_uses_dynamic_stack 0
		.amdhsa_enable_private_segment 0
		.amdhsa_system_sgpr_workgroup_id_x 1
		.amdhsa_system_sgpr_workgroup_id_y 1
		.amdhsa_system_sgpr_workgroup_id_z 0
		.amdhsa_system_sgpr_workgroup_info 0
		.amdhsa_system_vgpr_workitem_id 1
		.amdhsa_next_free_vgpr 58
		.amdhsa_next_free_sgpr 40
		.amdhsa_named_barrier_count 0
		.amdhsa_reserve_vcc 0
		.amdhsa_float_round_mode_32 0
		.amdhsa_float_round_mode_16_64 0
		.amdhsa_float_denorm_mode_32 3
		.amdhsa_float_denorm_mode_16_64 3
		.amdhsa_fp16_overflow 0
		.amdhsa_memory_ordered 1
		.amdhsa_forward_progress 1
		.amdhsa_inst_pref_size 14
		.amdhsa_round_robin_scheduling 0
		.amdhsa_exception_fp_ieee_invalid_op 0
		.amdhsa_exception_fp_denorm_src 0
		.amdhsa_exception_fp_ieee_div_zero 0
		.amdhsa_exception_fp_ieee_overflow 0
		.amdhsa_exception_fp_ieee_underflow 0
		.amdhsa_exception_fp_ieee_inexact 0
		.amdhsa_exception_int_div_zero 0
	.end_amdhsa_kernel
	.text
.Lfunc_end15:
	.size	_Z32comm_aosoa_constants_direct_permPK15HIP_vector_typeIfLj2EEPS0_S2_, .Lfunc_end15-_Z32comm_aosoa_constants_direct_permPK15HIP_vector_typeIfLj2EEPS0_S2_
                                        ; -- End function
	.set _Z32comm_aosoa_constants_direct_permPK15HIP_vector_typeIfLj2EEPS0_S2_.num_vgpr, 58
	.set _Z32comm_aosoa_constants_direct_permPK15HIP_vector_typeIfLj2EEPS0_S2_.num_agpr, 0
	.set _Z32comm_aosoa_constants_direct_permPK15HIP_vector_typeIfLj2EEPS0_S2_.numbered_sgpr, 40
	.set _Z32comm_aosoa_constants_direct_permPK15HIP_vector_typeIfLj2EEPS0_S2_.num_named_barrier, 0
	.set _Z32comm_aosoa_constants_direct_permPK15HIP_vector_typeIfLj2EEPS0_S2_.private_seg_size, 0
	.set _Z32comm_aosoa_constants_direct_permPK15HIP_vector_typeIfLj2EEPS0_S2_.uses_vcc, 0
	.set _Z32comm_aosoa_constants_direct_permPK15HIP_vector_typeIfLj2EEPS0_S2_.uses_flat_scratch, 0
	.set _Z32comm_aosoa_constants_direct_permPK15HIP_vector_typeIfLj2EEPS0_S2_.has_dyn_sized_stack, 0
	.set _Z32comm_aosoa_constants_direct_permPK15HIP_vector_typeIfLj2EEPS0_S2_.has_recursion, 0
	.set _Z32comm_aosoa_constants_direct_permPK15HIP_vector_typeIfLj2EEPS0_S2_.has_indirect_call, 0
	.section	.AMDGPU.csdata,"",@progbits
; Kernel info:
; codeLenInByte = 1704
; TotalNumSgprs: 40
; NumVgprs: 58
; ScratchSize: 0
; MemoryBound: 0
; FloatMode: 240
; IeeeMode: 1
; LDSByteSize: 0 bytes/workgroup (compile time only)
; SGPRBlocks: 0
; VGPRBlocks: 3
; NumSGPRsForWavesPerEU: 40
; NumVGPRsForWavesPerEU: 58
; NamedBarCnt: 0
; Occupancy: 16
; WaveLimiterHint : 1
; COMPUTE_PGM_RSRC2:SCRATCH_EN: 0
; COMPUTE_PGM_RSRC2:USER_SGPR: 2
; COMPUTE_PGM_RSRC2:TRAP_HANDLER: 0
; COMPUTE_PGM_RSRC2:TGID_X_EN: 1
; COMPUTE_PGM_RSRC2:TGID_Y_EN: 1
; COMPUTE_PGM_RSRC2:TGID_Z_EN: 0
; COMPUTE_PGM_RSRC2:TIDIG_COMP_CNT: 1
	.text
	.protected	_Z17comm_manual_aosoaPK15HIP_vector_typeIfLj2EEPS0_S2_i ; -- Begin function _Z17comm_manual_aosoaPK15HIP_vector_typeIfLj2EEPS0_S2_i
	.globl	_Z17comm_manual_aosoaPK15HIP_vector_typeIfLj2EEPS0_S2_i
	.p2align	8
	.type	_Z17comm_manual_aosoaPK15HIP_vector_typeIfLj2EEPS0_S2_i,@function
_Z17comm_manual_aosoaPK15HIP_vector_typeIfLj2EEPS0_S2_i: ; @_Z17comm_manual_aosoaPK15HIP_vector_typeIfLj2EEPS0_S2_i
; %bb.0:
	s_load_b32 s4, s[0:1], 0x18
	s_wait_kmcnt 0x0
	s_cmp_lt_i32 s4, 1
	s_cbranch_scc1 .LBB16_7
; %bb.1:
	s_load_b32 s2, s[0:1], 0x2c
	s_bfe_u32 s3, ttmp6, 0x4000c
	s_and_b32 s5, ttmp6, 15
	s_add_co_i32 s3, s3, 1
	s_getreg_b32 s6, hwreg(HW_REG_IB_STS2, 6, 4)
	s_mul_i32 s3, ttmp9, s3
	s_mul_i32 s20, s4, s4
	s_add_co_i32 s5, s5, s3
	s_mov_b32 s22, s20
	s_wait_kmcnt 0x0
	s_and_b32 s2, s2, 0xffff
	s_cmp_eq_u32 s6, 0
	s_load_b64 s[6:7], s[0:1], 0x10
	s_cselect_b32 s3, ttmp9, s5
	s_mov_b32 s5, 0
	v_mad_u32 v0, s3, s2, v0
	s_wait_xcnt 0x0
	s_load_b128 s[0:3], s[0:1], 0x0
	s_lshl_b64 s[8:9], s[4:5], 2
	s_lshl_b32 s21, s4, 1
	s_delay_alu instid0(VALU_DEP_1) | instskip(SKIP_3) | instid1(VALU_DEP_2)
	v_mul_lo_u32 v1, s20, v0
	v_mul_lo_u32 v8, s4, v0
	s_wait_kmcnt 0x0
	s_mov_b64 s[10:11], s[6:7]
	v_lshlrev_b32_e32 v9, 1, v1
	s_delay_alu instid0(VALU_DEP_1)
	v_mov_b32_e32 v10, v9
.LBB16_2:                               ; =>This Loop Header: Depth=1
                                        ;     Child Loop BB16_3 Depth 2
                                        ;       Child Loop BB16_4 Depth 3
	s_wait_xcnt 0x0
	s_delay_alu instid0(VALU_DEP_3) | instskip(SKIP_3) | instid1(VALU_DEP_1)
	v_dual_add_nc_u32 v0, s5, v8 :: v_dual_mov_b32 v12, v9
	s_mov_b64 s[12:13], s[6:7]
	s_mov_b32 s23, s20
	s_mov_b32 s24, 0
	v_mul_lo_u32 v11, v0, s4
.LBB16_3:                               ;   Parent Loop BB16_2 Depth=1
                                        ; =>  This Loop Header: Depth=2
                                        ;       Child Loop BB16_4 Depth 3
	s_wait_xcnt 0x0
	v_dual_mov_b32 v0, 0 :: v_dual_mov_b32 v13, v10
	v_mov_b32_e32 v14, v12
	s_mov_b32 s25, 0
	s_mov_b64 s[14:15], s[10:11]
	s_delay_alu instid0(VALU_DEP_2)
	v_dual_mov_b32 v1, v0 :: v_dual_mov_b32 v2, v0
	v_dual_mov_b32 v3, v0 :: v_dual_mov_b32 v4, v0
	;; [unrolled: 1-line block ×3, first 2 shown]
	v_mov_b32_e32 v7, v0
	s_mov_b64 s[16:17], s[12:13]
	s_mov_b32 s18, s23
.LBB16_4:                               ;   Parent Loop BB16_2 Depth=1
                                        ;     Parent Loop BB16_3 Depth=2
                                        ; =>    This Inner Loop Header: Depth=3
	s_clause 0x3
	global_load_b128 v[16:19], v14, s[0:1] scale_offset
	global_load_b128 v[20:23], v14, s[0:1] offset:16 scale_offset
	global_load_b128 v[24:27], v13, s[0:1] scale_offset
	global_load_b128 v[28:31], v13, s[0:1] offset:16 scale_offset
	s_ashr_i32 s19, s18, 31
	s_load_b32 s26, s[14:15], 0x0
	s_load_b32 s28, s[16:17], 0x0
	s_lshl_b64 s[30:31], s[18:19], 2
	s_add_co_i32 s27, s22, s25
	s_add_nc_u64 s[30:31], s[6:7], s[30:31]
	s_load_b32 s34, s[6:7], s27 offset:0x0 scale_offset
	v_dual_add_nc_u32 v14, s21, v14 :: v_dual_add_nc_u32 v13, 2, v13
	s_load_b32 s30, s[30:31], 0x0
	s_add_co_i32 s25, s25, 1
	s_add_co_i32 s18, s18, s4
	s_wait_xcnt 0x0
	s_add_nc_u64 s[16:17], s[16:17], s[8:9]
	s_cmp_eq_u32 s4, s25
	s_add_nc_u64 s[14:15], s[14:15], 4
	s_wait_loadcnt 0x3
	v_xor_b32_e32 v33, 0x80000000, v19
	v_xor_b32_e32 v32, 0x80000000, v18
	s_wait_kmcnt 0x0
	v_pk_fma_f32 v[0:1], v[16:17], s[26:27], v[0:1] op_sel_hi:[1,0,1] neg_lo:[1,0,0] neg_hi:[1,0,0]
	s_wait_loadcnt 0x2
	v_pk_fma_f32 v[6:7], s[26:27], v[22:23], v[6:7] op_sel_hi:[0,1,1]
	s_wait_loadcnt 0x1
	v_xor_b32_e32 v35, 0x80000000, v27
	v_xor_b32_e32 v34, 0x80000000, v26
	v_pk_fma_f32 v[4:5], s[26:27], v[20:21], v[4:5] op_sel_hi:[0,1,1]
	v_pk_fma_f32 v[2:3], v[32:33], s[26:27], v[2:3] op_sel_hi:[1,0,1]
	;; [unrolled: 1-line block ×3, first 2 shown]
	s_wait_loadcnt 0x0
	v_xor_b32_e32 v33, 0x80000000, v31
	v_pk_fma_f32 v[6:7], v[34:35], s[30:31], v[6:7] op_sel_hi:[1,0,1]
	v_pk_fma_f32 v[4:5], v[24:25], s[30:31], v[4:5] op_sel_hi:[1,0,1] neg_lo:[1,0,0] neg_hi:[1,0,0]
	v_pk_fma_f32 v[2:3], v[26:27], s[28:29], v[2:3] op_sel_hi:[1,0,1]
	v_xor_b32_e32 v32, 0x80000000, v30
	v_pk_fma_f32 v[0:1], v[20:21], s[34:35], v[0:1] op_sel_hi:[1,0,1]
	v_pk_fma_f32 v[6:7], v[18:19], s[34:35], v[6:7] op_sel_hi:[1,0,1]
	v_pk_fma_f32 v[4:5], v[16:17], s[34:35], v[4:5] op_sel_hi:[1,0,1]
	v_pk_fma_f32 v[2:3], v[22:23], s[34:35], v[2:3] op_sel_hi:[1,0,1]
	s_delay_alu instid0(VALU_DEP_4) | instskip(NEXT) | instid1(VALU_DEP_4)
	v_pk_fma_f32 v[0:1], v[28:29], s[30:31], v[0:1] op_sel_hi:[1,0,1] neg_lo:[1,0,0] neg_hi:[1,0,0]
	v_pk_fma_f32 v[6:7], s[28:29], v[30:31], v[6:7] op_sel_hi:[0,1,1] neg_lo:[1,0,0] neg_hi:[1,0,0]
	s_delay_alu instid0(VALU_DEP_4) | instskip(NEXT) | instid1(VALU_DEP_4)
	v_pk_fma_f32 v[4:5], s[28:29], v[28:29], v[4:5] op_sel_hi:[0,1,1] neg_lo:[1,0,0] neg_hi:[1,0,0]
	v_pk_fma_f32 v[2:3], v[32:33], s[30:31], v[2:3] op_sel_hi:[1,0,1]
	s_cbranch_scc0 .LBB16_4
; %bb.5:                                ;   in Loop: Header=BB16_3 Depth=2
	v_add_lshl_u32 v13, s24, v11, 1
	v_add_nc_u32_e32 v12, 2, v12
	s_add_co_i32 s24, s24, 1
	s_add_co_i32 s23, s23, 1
	s_add_nc_u64 s[12:13], s[12:13], 4
	s_clause 0x1
	global_load_b128 v[14:17], v13, s[2:3] scale_offset
	global_load_b128 v[18:21], v13, s[2:3] offset:16 scale_offset
	s_cmp_eq_u32 s24, s4
	s_wait_loadcnt 0x1
	v_pk_add_f32 v[6:7], v[6:7], v[16:17]
	v_pk_add_f32 v[4:5], v[4:5], v[14:15]
	s_wait_loadcnt 0x0
	v_pk_add_f32 v[2:3], v[2:3], v[20:21]
	v_pk_add_f32 v[0:1], v[0:1], v[18:19]
	s_clause 0x1
	global_store_b128 v13, v[4:7], s[2:3] scale_offset
	global_store_b128 v13, v[0:3], s[2:3] offset:16 scale_offset
	s_cbranch_scc0 .LBB16_3
; %bb.6:                                ;   in Loop: Header=BB16_2 Depth=1
	v_add_nc_u32_e32 v10, s21, v10
	s_add_co_i32 s5, s5, 1
	s_add_co_i32 s22, s22, s4
	s_cmp_eq_u32 s5, s4
	s_add_nc_u64 s[10:11], s[10:11], s[8:9]
	s_cbranch_scc0 .LBB16_2
.LBB16_7:
	s_endpgm
	.section	.rodata,"a",@progbits
	.p2align	6, 0x0
	.amdhsa_kernel _Z17comm_manual_aosoaPK15HIP_vector_typeIfLj2EEPS0_S2_i
		.amdhsa_group_segment_fixed_size 0
		.amdhsa_private_segment_fixed_size 0
		.amdhsa_kernarg_size 288
		.amdhsa_user_sgpr_count 2
		.amdhsa_user_sgpr_dispatch_ptr 0
		.amdhsa_user_sgpr_queue_ptr 0
		.amdhsa_user_sgpr_kernarg_segment_ptr 1
		.amdhsa_user_sgpr_dispatch_id 0
		.amdhsa_user_sgpr_kernarg_preload_length 0
		.amdhsa_user_sgpr_kernarg_preload_offset 0
		.amdhsa_user_sgpr_private_segment_size 0
		.amdhsa_wavefront_size32 1
		.amdhsa_uses_dynamic_stack 0
		.amdhsa_enable_private_segment 0
		.amdhsa_system_sgpr_workgroup_id_x 1
		.amdhsa_system_sgpr_workgroup_id_y 0
		.amdhsa_system_sgpr_workgroup_id_z 0
		.amdhsa_system_sgpr_workgroup_info 0
		.amdhsa_system_vgpr_workitem_id 0
		.amdhsa_next_free_vgpr 36
		.amdhsa_next_free_sgpr 36
		.amdhsa_named_barrier_count 0
		.amdhsa_reserve_vcc 0
		.amdhsa_float_round_mode_32 0
		.amdhsa_float_round_mode_16_64 0
		.amdhsa_float_denorm_mode_32 3
		.amdhsa_float_denorm_mode_16_64 3
		.amdhsa_fp16_overflow 0
		.amdhsa_memory_ordered 1
		.amdhsa_forward_progress 1
		.amdhsa_inst_pref_size 6
		.amdhsa_round_robin_scheduling 0
		.amdhsa_exception_fp_ieee_invalid_op 0
		.amdhsa_exception_fp_denorm_src 0
		.amdhsa_exception_fp_ieee_div_zero 0
		.amdhsa_exception_fp_ieee_overflow 0
		.amdhsa_exception_fp_ieee_underflow 0
		.amdhsa_exception_fp_ieee_inexact 0
		.amdhsa_exception_int_div_zero 0
	.end_amdhsa_kernel
	.text
.Lfunc_end16:
	.size	_Z17comm_manual_aosoaPK15HIP_vector_typeIfLj2EEPS0_S2_i, .Lfunc_end16-_Z17comm_manual_aosoaPK15HIP_vector_typeIfLj2EEPS0_S2_i
                                        ; -- End function
	.set _Z17comm_manual_aosoaPK15HIP_vector_typeIfLj2EEPS0_S2_i.num_vgpr, 36
	.set _Z17comm_manual_aosoaPK15HIP_vector_typeIfLj2EEPS0_S2_i.num_agpr, 0
	.set _Z17comm_manual_aosoaPK15HIP_vector_typeIfLj2EEPS0_S2_i.numbered_sgpr, 36
	.set _Z17comm_manual_aosoaPK15HIP_vector_typeIfLj2EEPS0_S2_i.num_named_barrier, 0
	.set _Z17comm_manual_aosoaPK15HIP_vector_typeIfLj2EEPS0_S2_i.private_seg_size, 0
	.set _Z17comm_manual_aosoaPK15HIP_vector_typeIfLj2EEPS0_S2_i.uses_vcc, 0
	.set _Z17comm_manual_aosoaPK15HIP_vector_typeIfLj2EEPS0_S2_i.uses_flat_scratch, 0
	.set _Z17comm_manual_aosoaPK15HIP_vector_typeIfLj2EEPS0_S2_i.has_dyn_sized_stack, 0
	.set _Z17comm_manual_aosoaPK15HIP_vector_typeIfLj2EEPS0_S2_i.has_recursion, 0
	.set _Z17comm_manual_aosoaPK15HIP_vector_typeIfLj2EEPS0_S2_i.has_indirect_call, 0
	.section	.AMDGPU.csdata,"",@progbits
; Kernel info:
; codeLenInByte = 768
; TotalNumSgprs: 36
; NumVgprs: 36
; ScratchSize: 0
; MemoryBound: 0
; FloatMode: 240
; IeeeMode: 1
; LDSByteSize: 0 bytes/workgroup (compile time only)
; SGPRBlocks: 0
; VGPRBlocks: 2
; NumSGPRsForWavesPerEU: 36
; NumVGPRsForWavesPerEU: 36
; NamedBarCnt: 0
; Occupancy: 16
; WaveLimiterHint : 0
; COMPUTE_PGM_RSRC2:SCRATCH_EN: 0
; COMPUTE_PGM_RSRC2:USER_SGPR: 2
; COMPUTE_PGM_RSRC2:TRAP_HANDLER: 0
; COMPUTE_PGM_RSRC2:TGID_X_EN: 1
; COMPUTE_PGM_RSRC2:TGID_Y_EN: 0
; COMPUTE_PGM_RSRC2:TGID_Z_EN: 0
; COMPUTE_PGM_RSRC2:TIDIG_COMP_CNT: 0
	.text
	.protected	_Z27comm_manual_aosoa_constantsPK15HIP_vector_typeIfLj2EEPS0_S2_ ; -- Begin function _Z27comm_manual_aosoa_constantsPK15HIP_vector_typeIfLj2EEPS0_S2_
	.globl	_Z27comm_manual_aosoa_constantsPK15HIP_vector_typeIfLj2EEPS0_S2_
	.p2align	8
	.type	_Z27comm_manual_aosoa_constantsPK15HIP_vector_typeIfLj2EEPS0_S2_,@function
_Z27comm_manual_aosoa_constantsPK15HIP_vector_typeIfLj2EEPS0_S2_: ; @_Z27comm_manual_aosoa_constantsPK15HIP_vector_typeIfLj2EEPS0_S2_
; %bb.0:
	s_load_b32 s2, s[0:1], 0x24
	s_bfe_u32 s3, ttmp6, 0x4000c
	s_and_b32 s4, ttmp6, 15
	s_add_co_i32 s3, s3, 1
	s_getreg_b32 s5, hwreg(HW_REG_IB_STS2, 6, 4)
	s_mul_i32 s3, ttmp9, s3
	s_mov_b32 s23, 0
	s_add_co_i32 s4, s4, s3
	s_mov_b32 s33, 0
	s_mov_b32 s71, 0
	s_load_b64 s[20:21], s[0:1], 0x10
	s_wait_kmcnt 0x0
	s_and_b32 s2, s2, 0xffff
	s_cmp_eq_u32 s5, 0
	s_cselect_b32 s3, ttmp9, s4
	s_load_b128 s[4:7], s[0:1], 0x0
	v_mad_u32 v0, s3, s2, v0
	s_delay_alu instid0(VALU_DEP_1) | instskip(NEXT) | instid1(VALU_DEP_1)
	v_mul_lo_u32 v64, 0x62, v0
	v_ashrrev_i32_e32 v65, 31, v64
	s_wait_kmcnt 0x0
	s_delay_alu instid0(VALU_DEP_1) | instskip(SKIP_1) | instid1(VALU_DEP_2)
	v_lshl_add_u64 v[0:1], v[64:65], 4, s[4:5]
	v_add_nc_u32_e32 v65, 0x54, v64
	v_add_nc_u64_e32 v[66:67], 16, v[0:1]
.LBB17_1:                               ; =>This Loop Header: Depth=1
                                        ;     Child Loop BB17_2 Depth 2
	s_mul_i32 s22, s71, 7
	v_mad_u32 v24, s71, 14, v64
	s_lshl_b32 s0, s22, 1
	s_delay_alu instid0(VALU_DEP_2)
	v_mov_b64_e32 v[68:69], v[66:67]
	v_add3_u32 v25, s0, 2, v64
	v_add3_u32 v32, s0, 6, v64
	s_wait_xcnt 0x1
	v_add3_u32 v56, s0, 8, v64
	v_add3_u32 v26, s0, 4, v64
	;; [unrolled: 1-line block ×4, first 2 shown]
	s_clause 0xd
	global_load_b128 v[0:3], v25, s[4:5] offset:16 scale_offset
	global_load_b128 v[4:7], v25, s[4:5] scale_offset
	global_load_b128 v[8:11], v26, s[4:5] offset:16 scale_offset
	global_load_b128 v[12:15], v26, s[4:5] scale_offset
	;; [unrolled: 2-line block ×7, first 2 shown]
	s_lshl_b64 s[0:1], s[22:23], 2
	v_mov_b32_e32 v90, v65
	s_add_nc_u64 s[24:25], s[20:21], s[0:1]
	s_clause 0x3
	s_load_b128 s[0:3], s[24:25], 0x0
	s_load_b128 s[8:11], s[24:25], 0xc4
	s_load_b96 s[12:14], s[24:25], 0xd4
	s_load_b96 s[16:18], s[24:25], 0x10
	s_mov_b64 s[66:67], 0
	s_wait_kmcnt 0x0
	s_wait_xcnt 0x0
	s_mov_b32 s24, s0
	s_mov_b32 s25, s0
	;; [unrolled: 1-line block ×48, first 2 shown]
.LBB17_2:                               ;   Parent Loop BB17_1 Depth=1
                                        ; =>  This Inner Loop Header: Depth=2
	s_clause 0x1
	global_load_b128 v[56:59], v[68:69], off
	global_load_b128 v[60:63], v[68:69], off offset:-16
	s_add_nc_u64 s[68:69], s[20:21], s[66:67]
	s_clause 0x1
	s_load_b32 s70, s[68:69], 0xc4
	s_load_b32 s22, s[68:69], 0xa8
	v_mov_b64_e32 v[72:73], s[26:27]
	v_mov_b64_e32 v[86:87], s[24:25]
	s_clause 0x5
	s_load_b32 s76, s[68:69], 0x0
	s_load_b32 s80, s[68:69], 0x1c
	;; [unrolled: 1-line block ×6, first 2 shown]
	s_wait_loadcnt 0xa
	v_xor_b32_e32 v83, 0x80000000, v23
	v_xor_b32_e32 v82, 0x80000000, v22
	v_mov_b64_e32 v[70:71], s[30:31]
	v_mov_b64_e32 v[74:75], s[28:29]
	v_add_nc_u32_e32 v91, 0xffffffba, v90
	v_xor_b32_e32 v79, 0x80000000, v19
	v_xor_b32_e32 v78, 0x80000000, v18
	v_mov_b64_e32 v[84:85], s[34:35]
	v_mov_b64_e32 v[80:81], s[0:1]
	;; [unrolled: 1-line block ×3, first 2 shown]
	v_xor_b32_e32 v77, 0x80000000, v7
	v_xor_b32_e32 v76, 0x80000000, v6
	v_mov_b64_e32 v[88:89], s[8:9]
	v_subrev_nc_u32_e32 v100, 56, v90
	v_xor_b32_e32 v99, 0x80000000, v3
	v_xor_b32_e32 v98, 0x80000000, v2
	v_add_nc_u64_e32 v[68:69], 32, v[68:69]
	s_add_nc_u64 s[66:67], s[66:67], 4
	s_delay_alu instid0(SALU_CYCLE_1)
	s_cmp_lg_u32 s66, 28
	s_wait_loadcnt 0x1
	v_pk_fma_f32 v[92:93], v[72:73], v[58:59], 0 op_sel_hi:[1,1,0]
	v_pk_fma_f32 v[94:95], v[86:87], v[56:57], 0 op_sel_hi:[1,1,0]
	s_wait_loadcnt 0x0
	v_pk_fma_f32 v[86:87], v[60:61], v[86:87], 0 op_sel_hi:[1,1,0] neg_lo:[1,0,0] neg_hi:[1,0,0]
	s_wait_kmcnt 0x0
	v_pk_fma_f32 v[82:83], v[82:83], s[70:71], v[92:93] op_sel_hi:[1,0,1]
	v_xor_b32_e32 v93, 0x80000000, v63
	v_xor_b32_e32 v92, 0x80000000, v62
	v_pk_fma_f32 v[94:95], v[20:21], s[70:71], v[94:95] op_sel_hi:[1,0,1] neg_lo:[1,0,0] neg_hi:[1,0,0]
	s_delay_alu instid0(VALU_DEP_4) | instskip(SKIP_1) | instid1(VALU_DEP_3)
	v_pk_fma_f32 v[82:83], v[62:63], v[70:71], v[82:83]
	v_pk_fma_f32 v[62:63], v[20:21], s[76:77], v[86:87] op_sel_hi:[1,0,1]
	v_pk_fma_f32 v[94:95], v[60:61], v[74:75], v[94:95]
	v_pk_fma_f32 v[60:61], v[92:93], v[72:73], 0 op_sel_hi:[1,1,0]
	s_delay_alu instid0(VALU_DEP_4) | instskip(NEXT) | instid1(VALU_DEP_4)
	v_pk_fma_f32 v[82:83], s[76:77], v[18:19], v[82:83] op_sel_hi:[0,1,1] neg_lo:[1,0,0] neg_hi:[1,0,0]
	v_pk_fma_f32 v[72:73], v[56:57], v[74:75], v[62:63]
	v_mov_b64_e32 v[74:75], s[40:41]
	v_pk_fma_f32 v[86:87], s[76:77], v[16:17], v[94:95] op_sel_hi:[0,1,1] neg_lo:[1,0,0] neg_hi:[1,0,0]
	v_pk_fma_f32 v[56:57], v[22:23], s[76:77], v[60:61] op_sel_hi:[1,0,1]
	v_xor_b32_e32 v93, 0x80000000, v11
	v_pk_fma_f32 v[72:73], v[16:17], s[70:71], v[72:73] op_sel_hi:[1,0,1] neg_lo:[1,0,0] neg_hi:[1,0,0]
	v_xor_b32_e32 v92, 0x80000000, v10
	v_mov_b64_e32 v[94:95], s[2:3]
	v_pk_fma_f32 v[70:71], v[58:59], v[70:71], v[56:57]
	s_clause 0x1
	global_load_b128 v[56:59], v91, s[4:5] scale_offset
	global_load_b128 v[60:63], v91, s[4:5] offset:16 scale_offset
	s_wait_xcnt 0x0
	v_subrev_nc_u32_e32 v91, 42, v90
	v_pk_fma_f32 v[70:71], v[78:79], s[70:71], v[70:71] op_sel_hi:[1,0,1]
	s_clause 0x4
	s_load_b32 s84, s[68:69], 0xe0
	s_load_b32 s86, s[68:69], 0xfc
	;; [unrolled: 1-line block ×5, first 2 shown]
	s_wait_xcnt 0x0
	s_load_b32 s68, s[68:69], 0x16c
	s_wait_loadcnt 0x1
	v_pk_fma_f32 v[72:73], v[56:57], v[84:85], v[72:73] neg_lo:[1,0,0] neg_hi:[1,0,0]
	s_wait_loadcnt 0x0
	v_pk_fma_f32 v[84:85], v[84:85], v[60:61], v[86:87]
	v_xor_b32_e32 v79, 0x80000000, v59
	v_xor_b32_e32 v78, 0x80000000, v58
	v_mov_b64_e32 v[86:87], s[44:45]
	s_wait_kmcnt 0x0
	v_pk_fma_f32 v[84:85], v[4:5], s[84:85], v[84:85] op_sel_hi:[1,0,1] neg_lo:[1,0,0] neg_hi:[1,0,0]
	s_delay_alu instid0(VALU_DEP_3) | instskip(SKIP_2) | instid1(VALU_DEP_4)
	v_pk_fma_f32 v[70:71], v[78:79], v[80:81], v[70:71]
	v_pk_fma_f32 v[80:81], v[80:81], v[62:63], v[82:83]
	v_mov_b64_e32 v[78:79], s[38:39]
	v_pk_fma_f32 v[84:85], v[56:57], v[96:97], v[84:85]
	v_pk_fma_f32 v[56:57], v[4:5], s[80:81], v[72:73] op_sel_hi:[1,0,1]
	v_xor_b32_e32 v83, 0x80000000, v15
	v_pk_fma_f32 v[76:77], v[76:77], s[84:85], v[80:81] op_sel_hi:[1,0,1]
	v_mov_b64_e32 v[80:81], s[42:43]
	v_pk_fma_f32 v[84:85], s[80:81], v[0:1], v[84:85] op_sel_hi:[0,1,1] neg_lo:[1,0,0] neg_hi:[1,0,0]
	v_pk_fma_f32 v[72:73], v[60:61], v[96:97], v[56:57]
	v_pk_fma_f32 v[56:57], v[6:7], s[80:81], v[70:71] op_sel_hi:[1,0,1]
	v_pk_fma_f32 v[76:77], v[58:59], v[88:89], v[76:77]
	v_xor_b32_e32 v82, 0x80000000, v14
	v_xor_b32_e32 v97, 0x80000000, v27
	v_pk_fma_f32 v[72:73], v[0:1], s[84:85], v[72:73] op_sel_hi:[1,0,1] neg_lo:[1,0,0] neg_hi:[1,0,0]
	v_pk_fma_f32 v[70:71], v[62:63], v[88:89], v[56:57]
	s_clause 0x1
	global_load_b128 v[56:59], v100, s[4:5] scale_offset
	global_load_b128 v[60:63], v100, s[4:5] offset:16 scale_offset
	v_pk_fma_f32 v[76:77], s[80:81], v[2:3], v[76:77] op_sel_hi:[0,1,1] neg_lo:[1,0,0] neg_hi:[1,0,0]
	v_xor_b32_e32 v96, 0x80000000, v26
	v_pk_fma_f32 v[70:71], v[98:99], s[84:85], v[70:71] op_sel_hi:[1,0,1]
	v_subrev_nc_u32_e32 v98, 28, v90
	s_wait_loadcnt 0x1
	v_xor_b32_e32 v89, 0x80000000, v59
	s_wait_loadcnt 0x0
	v_pk_fma_f32 v[84:85], v[78:79], v[60:61], v[84:85]
	v_xor_b32_e32 v88, 0x80000000, v58
	v_pk_fma_f32 v[72:73], v[56:57], v[78:79], v[72:73] neg_lo:[1,0,0] neg_hi:[1,0,0]
	v_mov_b64_e32 v[78:79], s[10:11]
	s_delay_alu instid0(VALU_DEP_4) | instskip(NEXT) | instid1(VALU_DEP_4)
	v_pk_fma_f32 v[84:85], v[12:13], s[86:87], v[84:85] op_sel_hi:[1,0,1] neg_lo:[1,0,0] neg_hi:[1,0,0]
	v_pk_fma_f32 v[70:71], v[88:89], v[74:75], v[70:71]
	v_pk_fma_f32 v[74:75], v[74:75], v[62:63], v[76:77]
	v_mov_b64_e32 v[88:89], s[46:47]
	v_xor_b32_e32 v77, 0x80000000, v31
	v_pk_fma_f32 v[84:85], v[56:57], v[80:81], v[84:85]
	v_pk_fma_f32 v[56:57], v[12:13], s[82:83], v[72:73] op_sel_hi:[1,0,1]
	v_pk_fma_f32 v[74:75], v[82:83], s[86:87], v[74:75] op_sel_hi:[1,0,1]
	v_mov_b64_e32 v[82:83], s[48:49]
	v_xor_b32_e32 v76, 0x80000000, v30
	v_pk_fma_f32 v[84:85], s[82:83], v[8:9], v[84:85] op_sel_hi:[0,1,1] neg_lo:[1,0,0] neg_hi:[1,0,0]
	v_pk_fma_f32 v[72:73], v[60:61], v[80:81], v[56:57]
	v_pk_fma_f32 v[56:57], v[14:15], s[82:83], v[70:71] op_sel_hi:[1,0,1]
	v_pk_fma_f32 v[74:75], v[58:59], v[86:87], v[74:75]
	v_mov_b64_e32 v[80:81], s[52:53]
	s_delay_alu instid0(VALU_DEP_4) | instskip(NEXT) | instid1(VALU_DEP_4)
	v_pk_fma_f32 v[72:73], v[8:9], s[86:87], v[72:73] op_sel_hi:[1,0,1] neg_lo:[1,0,0] neg_hi:[1,0,0]
	v_pk_fma_f32 v[70:71], v[62:63], v[86:87], v[56:57]
	s_clause 0x1
	global_load_b128 v[56:59], v91, s[4:5] scale_offset
	global_load_b128 v[60:63], v91, s[4:5] offset:16 scale_offset
	v_pk_fma_f32 v[74:75], s[82:83], v[10:11], v[74:75] op_sel_hi:[0,1,1] neg_lo:[1,0,0] neg_hi:[1,0,0]
	s_wait_xcnt 0x0
	v_add_nc_u32_e32 v91, -14, v90
	v_pk_fma_f32 v[70:71], v[92:93], s[86:87], v[70:71] op_sel_hi:[1,0,1]
	v_xor_b32_e32 v93, 0x80000000, v39
	v_xor_b32_e32 v92, 0x80000000, v38
	s_wait_loadcnt 0x1
	v_xor_b32_e32 v87, 0x80000000, v59
	s_wait_loadcnt 0x0
	v_pk_fma_f32 v[84:85], v[88:89], v[60:61], v[84:85]
	v_xor_b32_e32 v86, 0x80000000, v58
	v_pk_fma_f32 v[72:73], v[56:57], v[88:89], v[72:73] neg_lo:[1,0,0] neg_hi:[1,0,0]
	v_pk_fma_f32 v[74:75], v[94:95], v[62:63], v[74:75]
	v_mov_b64_e32 v[88:89], s[56:57]
	v_pk_fma_f32 v[84:85], v[28:29], s[88:89], v[84:85] op_sel_hi:[1,0,1] neg_lo:[1,0,0] neg_hi:[1,0,0]
	v_pk_fma_f32 v[70:71], v[86:87], v[94:95], v[70:71]
	v_mov_b64_e32 v[86:87], s[50:51]
	v_pk_fma_f32 v[74:75], v[76:77], s[88:89], v[74:75] op_sel_hi:[1,0,1]
	v_mov_b64_e32 v[76:77], s[54:55]
	v_pk_fma_f32 v[84:85], v[56:57], v[82:83], v[84:85]
	v_pk_fma_f32 v[56:57], v[28:29], s[78:79], v[72:73] op_sel_hi:[1,0,1]
	v_xor_b32_e32 v95, 0x80000000, v35
	v_pk_fma_f32 v[74:75], v[58:59], v[78:79], v[74:75]
	v_xor_b32_e32 v94, 0x80000000, v34
	s_delay_alu instid0(VALU_DEP_4) | instskip(SKIP_2) | instid1(VALU_DEP_3)
	v_pk_fma_f32 v[72:73], v[60:61], v[82:83], v[56:57]
	v_pk_fma_f32 v[56:57], v[30:31], s[78:79], v[70:71] op_sel_hi:[1,0,1]
	v_mov_b64_e32 v[82:83], s[16:17]
	v_pk_fma_f32 v[72:73], v[24:25], s[88:89], v[72:73] op_sel_hi:[1,0,1] neg_lo:[1,0,0] neg_hi:[1,0,0]
	s_delay_alu instid0(VALU_DEP_3)
	v_pk_fma_f32 v[70:71], v[62:63], v[78:79], v[56:57]
	s_clause 0x1
	global_load_b128 v[56:59], v98, s[4:5] scale_offset
	global_load_b128 v[60:63], v98, s[4:5] offset:16 scale_offset
	v_pk_fma_f32 v[70:71], v[96:97], s[88:89], v[70:71] op_sel_hi:[1,0,1]
	v_mov_b64_e32 v[96:97], s[58:59]
	s_wait_loadcnt 0x1
	v_xor_b32_e32 v79, 0x80000000, v59
	v_xor_b32_e32 v78, 0x80000000, v58
	s_delay_alu instid0(VALU_DEP_1) | instskip(SKIP_3) | instid1(VALU_DEP_4)
	v_pk_fma_f32 v[78:79], v[78:79], v[80:81], v[70:71]
	v_pk_fma_f32 v[70:71], s[78:79], v[26:27], v[74:75] op_sel_hi:[0,1,1] neg_lo:[1,0,0] neg_hi:[1,0,0]
	v_pk_fma_f32 v[74:75], s[78:79], v[24:25], v[84:85] op_sel_hi:[0,1,1] neg_lo:[1,0,0] neg_hi:[1,0,0]
	v_pk_fma_f32 v[84:85], v[56:57], v[86:87], v[72:73] neg_lo:[1,0,0] neg_hi:[1,0,0]
	v_pk_fma_f32 v[78:79], v[38:39], s[74:75], v[78:79] op_sel_hi:[1,0,1]
	s_wait_loadcnt 0x0
	v_pk_fma_f32 v[70:71], v[80:81], v[62:63], v[70:71]
	v_pk_fma_f32 v[74:75], v[86:87], v[60:61], v[74:75]
	v_xor_b32_e32 v81, 0x80000000, v47
	v_xor_b32_e32 v80, 0x80000000, v46
	s_delay_alu instid0(VALU_DEP_4) | instskip(SKIP_3) | instid1(VALU_DEP_2)
	v_pk_fma_f32 v[86:87], v[92:93], s[76:77], v[70:71] op_sel_hi:[1,0,1]
	global_load_b128 v[70:73], v91, s[4:5] scale_offset
	v_pk_fma_f32 v[74:75], v[36:37], s[76:77], v[74:75] op_sel_hi:[1,0,1] neg_lo:[1,0,0] neg_hi:[1,0,0]
	v_pk_fma_f32 v[86:87], v[58:59], v[88:89], v[86:87]
	v_pk_fma_f32 v[92:93], v[56:57], v[76:77], v[74:75]
	global_load_b128 v[56:59], v91, s[4:5] offset:16 scale_offset
	v_pk_fma_f32 v[74:75], v[36:37], s[74:75], v[84:85] op_sel_hi:[1,0,1]
	s_wait_xcnt 0x0
	v_add3_u32 v91, s33, v90, 0xffffffac
	s_delay_alu instid0(VALU_DEP_2)
	v_pk_fma_f32 v[84:85], v[60:61], v[76:77], v[74:75]
	v_pk_fma_f32 v[74:75], v[62:63], v[88:89], v[78:79]
	global_load_b128 v[60:63], v90, s[4:5] scale_offset
	v_pk_fma_f32 v[78:79], s[74:75], v[34:35], v[86:87] op_sel_hi:[0,1,1] neg_lo:[1,0,0] neg_hi:[1,0,0]
	v_pk_fma_f32 v[86:87], s[74:75], v[32:33], v[92:93] op_sel_hi:[0,1,1] neg_lo:[1,0,0] neg_hi:[1,0,0]
	v_mov_b64_e32 v[88:89], s[12:13]
	v_pk_fma_f32 v[74:75], v[94:95], s[76:77], v[74:75] op_sel_hi:[1,0,1]
	v_pk_fma_f32 v[84:85], v[32:33], s[76:77], v[84:85] op_sel_hi:[1,0,1] neg_lo:[1,0,0] neg_hi:[1,0,0]
	s_wait_loadcnt 0x2
	v_xor_b32_e32 v77, 0x80000000, v73
	v_xor_b32_e32 v76, 0x80000000, v72
	s_delay_alu instid0(VALU_DEP_3) | instskip(NEXT) | instid1(VALU_DEP_2)
	v_pk_fma_f32 v[84:85], v[70:71], v[96:97], v[84:85] neg_lo:[1,0,0] neg_hi:[1,0,0]
	v_pk_fma_f32 v[94:95], v[76:77], v[82:83], v[74:75]
	global_load_b128 v[74:77], v90, s[4:5] offset:16 scale_offset
	s_wait_loadcnt 0x2
	v_pk_fma_f32 v[78:79], v[82:83], v[58:59], v[78:79]
	v_pk_fma_f32 v[86:87], v[96:97], v[56:57], v[86:87]
	v_mov_b64_e32 v[82:83], s[60:61]
	v_pk_fma_f32 v[84:85], v[44:45], s[72:73], v[84:85] op_sel_hi:[1,0,1]
	s_wait_xcnt 0x0
	v_add_nc_u32_e32 v90, 2, v90
	v_pk_fma_f32 v[92:93], v[80:81], s[70:71], v[78:79] op_sel_hi:[1,0,1]
	v_pk_fma_f32 v[86:87], v[44:45], s[70:71], v[86:87] op_sel_hi:[1,0,1] neg_lo:[1,0,0] neg_hi:[1,0,0]
	global_load_b128 v[78:81], v91, s[6:7] scale_offset
	v_pk_fma_f32 v[56:57], v[56:57], v[82:83], v[84:85]
	v_pk_fma_f32 v[92:93], v[72:73], v[88:89], v[92:93]
	;; [unrolled: 1-line block ×3, first 2 shown]
	global_load_b128 v[70:73], v91, s[6:7] offset:16 scale_offset
	v_pk_fma_f32 v[84:85], v[46:47], s[72:73], v[94:95] op_sel_hi:[1,0,1]
	v_xor_b32_e32 v83, 0x80000000, v43
	v_xor_b32_e32 v82, 0x80000000, v42
	v_pk_fma_f32 v[92:93], s[72:73], v[42:43], v[92:93] op_sel_hi:[0,1,1] neg_lo:[1,0,0] neg_hi:[1,0,0]
	v_pk_fma_f32 v[86:87], s[72:73], v[40:41], v[86:87] op_sel_hi:[0,1,1] neg_lo:[1,0,0] neg_hi:[1,0,0]
	v_pk_fma_f32 v[58:59], v[58:59], v[88:89], v[84:85]
	v_mov_b64_e32 v[84:85], s[18:19]
	v_mov_b64_e32 v[88:89], s[62:63]
	v_pk_fma_f32 v[56:57], v[40:41], s[70:71], v[56:57] op_sel_hi:[1,0,1] neg_lo:[1,0,0] neg_hi:[1,0,0]
	v_xor_b32_e32 v95, 0x80000000, v55
	v_pk_fma_f32 v[58:59], v[82:83], s[70:71], v[58:59] op_sel_hi:[1,0,1]
	s_wait_loadcnt 0x3
	v_xor_b32_e32 v83, 0x80000000, v63
	v_xor_b32_e32 v82, 0x80000000, v62
	;; [unrolled: 1-line block ×3, first 2 shown]
	v_pk_fma_f32 v[56:57], v[60:61], v[88:89], v[56:57] neg_lo:[1,0,0] neg_hi:[1,0,0]
	s_delay_alu instid0(VALU_DEP_3) | instskip(SKIP_1) | instid1(VALU_DEP_3)
	v_pk_fma_f32 v[58:59], v[82:83], v[84:85], v[58:59]
	v_mov_b64_e32 v[82:83], s[14:15]
	v_pk_fma_f32 v[56:57], v[52:53], s[22:23], v[56:57] op_sel_hi:[1,0,1]
	s_delay_alu instid0(VALU_DEP_3)
	v_pk_fma_f32 v[58:59], v[54:55], s[22:23], v[58:59] op_sel_hi:[1,0,1]
	s_wait_loadcnt 0x2
	v_pk_fma_f32 v[84:85], v[84:85], v[76:77], v[92:93]
	v_pk_fma_f32 v[86:87], v[88:89], v[74:75], v[86:87]
	v_mov_b64_e32 v[92:93], s[64:65]
	v_xor_b32_e32 v89, 0x80000000, v51
	v_xor_b32_e32 v88, 0x80000000, v50
	v_pk_fma_f32 v[84:85], v[94:95], s[68:69], v[84:85] op_sel_hi:[1,0,1]
	v_pk_fma_f32 v[86:87], v[52:53], s[68:69], v[86:87] op_sel_hi:[1,0,1] neg_lo:[1,0,0] neg_hi:[1,0,0]
	v_pk_fma_f32 v[58:59], v[76:77], v[82:83], v[58:59]
	v_pk_fma_f32 v[56:57], v[74:75], v[92:93], v[56:57]
	s_delay_alu instid0(VALU_DEP_4) | instskip(NEXT) | instid1(VALU_DEP_4)
	v_pk_fma_f32 v[62:63], v[62:63], v[82:83], v[84:85]
	v_pk_fma_f32 v[60:61], v[60:61], v[92:93], v[86:87]
	s_delay_alu instid0(VALU_DEP_4) | instskip(NEXT) | instid1(VALU_DEP_4)
	v_pk_fma_f32 v[76:77], v[88:89], s[68:69], v[58:59] op_sel_hi:[1,0,1]
	v_pk_fma_f32 v[74:75], v[48:49], s[68:69], v[56:57] op_sel_hi:[1,0,1] neg_lo:[1,0,0] neg_hi:[1,0,0]
	s_delay_alu instid0(VALU_DEP_4) | instskip(NEXT) | instid1(VALU_DEP_4)
	v_pk_fma_f32 v[62:63], s[22:23], v[50:51], v[62:63] op_sel_hi:[0,1,1] neg_lo:[1,0,0] neg_hi:[1,0,0]
	v_pk_fma_f32 v[60:61], s[22:23], v[48:49], v[60:61] op_sel_hi:[0,1,1] neg_lo:[1,0,0] neg_hi:[1,0,0]
	s_wait_loadcnt 0x1
	s_delay_alu instid0(VALU_DEP_2) | instskip(NEXT) | instid1(VALU_DEP_2)
	v_pk_add_f32 v[58:59], v[62:63], v[80:81]
	v_pk_add_f32 v[56:57], v[60:61], v[78:79]
	s_wait_loadcnt 0x0
	v_pk_add_f32 v[60:61], v[74:75], v[70:71]
	v_pk_add_f32 v[62:63], v[76:77], v[72:73]
	s_clause 0x1
	global_store_b128 v91, v[56:59], s[6:7] scale_offset
	global_store_b128 v91, v[60:63], s[6:7] offset:16 scale_offset
	s_cbranch_scc1 .LBB17_2
; %bb.3:                                ;   in Loop: Header=BB17_1 Depth=1
	s_add_co_i32 s71, s71, 1
	s_add_co_i32 s33, s33, 14
	s_cmp_eq_u32 s71, 7
	s_cbranch_scc0 .LBB17_1
; %bb.4:
	s_sendmsg sendmsg(MSG_DEALLOC_VGPRS)
	s_endpgm
	.section	.rodata,"a",@progbits
	.p2align	6, 0x0
	.amdhsa_kernel _Z27comm_manual_aosoa_constantsPK15HIP_vector_typeIfLj2EEPS0_S2_
		.amdhsa_group_segment_fixed_size 0
		.amdhsa_private_segment_fixed_size 0
		.amdhsa_kernarg_size 280
		.amdhsa_user_sgpr_count 2
		.amdhsa_user_sgpr_dispatch_ptr 0
		.amdhsa_user_sgpr_queue_ptr 0
		.amdhsa_user_sgpr_kernarg_segment_ptr 1
		.amdhsa_user_sgpr_dispatch_id 0
		.amdhsa_user_sgpr_kernarg_preload_length 0
		.amdhsa_user_sgpr_kernarg_preload_offset 0
		.amdhsa_user_sgpr_private_segment_size 0
		.amdhsa_wavefront_size32 1
		.amdhsa_uses_dynamic_stack 0
		.amdhsa_enable_private_segment 0
		.amdhsa_system_sgpr_workgroup_id_x 1
		.amdhsa_system_sgpr_workgroup_id_y 0
		.amdhsa_system_sgpr_workgroup_id_z 0
		.amdhsa_system_sgpr_workgroup_info 0
		.amdhsa_system_vgpr_workitem_id 0
		.amdhsa_next_free_vgpr 101
		.amdhsa_next_free_sgpr 90
		.amdhsa_named_barrier_count 0
		.amdhsa_reserve_vcc 0
		.amdhsa_float_round_mode_32 0
		.amdhsa_float_round_mode_16_64 0
		.amdhsa_float_denorm_mode_32 3
		.amdhsa_float_denorm_mode_16_64 3
		.amdhsa_fp16_overflow 0
		.amdhsa_memory_ordered 1
		.amdhsa_forward_progress 1
		.amdhsa_inst_pref_size 21
		.amdhsa_round_robin_scheduling 0
		.amdhsa_exception_fp_ieee_invalid_op 0
		.amdhsa_exception_fp_denorm_src 0
		.amdhsa_exception_fp_ieee_div_zero 0
		.amdhsa_exception_fp_ieee_overflow 0
		.amdhsa_exception_fp_ieee_underflow 0
		.amdhsa_exception_fp_ieee_inexact 0
		.amdhsa_exception_int_div_zero 0
	.end_amdhsa_kernel
	.text
.Lfunc_end17:
	.size	_Z27comm_manual_aosoa_constantsPK15HIP_vector_typeIfLj2EEPS0_S2_, .Lfunc_end17-_Z27comm_manual_aosoa_constantsPK15HIP_vector_typeIfLj2EEPS0_S2_
                                        ; -- End function
	.set _Z27comm_manual_aosoa_constantsPK15HIP_vector_typeIfLj2EEPS0_S2_.num_vgpr, 101
	.set _Z27comm_manual_aosoa_constantsPK15HIP_vector_typeIfLj2EEPS0_S2_.num_agpr, 0
	.set _Z27comm_manual_aosoa_constantsPK15HIP_vector_typeIfLj2EEPS0_S2_.numbered_sgpr, 90
	.set _Z27comm_manual_aosoa_constantsPK15HIP_vector_typeIfLj2EEPS0_S2_.num_named_barrier, 0
	.set _Z27comm_manual_aosoa_constantsPK15HIP_vector_typeIfLj2EEPS0_S2_.private_seg_size, 0
	.set _Z27comm_manual_aosoa_constantsPK15HIP_vector_typeIfLj2EEPS0_S2_.uses_vcc, 0
	.set _Z27comm_manual_aosoa_constantsPK15HIP_vector_typeIfLj2EEPS0_S2_.uses_flat_scratch, 0
	.set _Z27comm_manual_aosoa_constantsPK15HIP_vector_typeIfLj2EEPS0_S2_.has_dyn_sized_stack, 0
	.set _Z27comm_manual_aosoa_constantsPK15HIP_vector_typeIfLj2EEPS0_S2_.has_recursion, 0
	.set _Z27comm_manual_aosoa_constantsPK15HIP_vector_typeIfLj2EEPS0_S2_.has_indirect_call, 0
	.section	.AMDGPU.csdata,"",@progbits
; Kernel info:
; codeLenInByte = 2632
; TotalNumSgprs: 90
; NumVgprs: 101
; ScratchSize: 0
; MemoryBound: 1
; FloatMode: 240
; IeeeMode: 1
; LDSByteSize: 0 bytes/workgroup (compile time only)
; SGPRBlocks: 0
; VGPRBlocks: 6
; NumSGPRsForWavesPerEU: 90
; NumVGPRsForWavesPerEU: 101
; NamedBarCnt: 0
; Occupancy: 9
; WaveLimiterHint : 1
; COMPUTE_PGM_RSRC2:SCRATCH_EN: 0
; COMPUTE_PGM_RSRC2:USER_SGPR: 2
; COMPUTE_PGM_RSRC2:TRAP_HANDLER: 0
; COMPUTE_PGM_RSRC2:TGID_X_EN: 1
; COMPUTE_PGM_RSRC2:TGID_Y_EN: 0
; COMPUTE_PGM_RSRC2:TGID_Z_EN: 0
; COMPUTE_PGM_RSRC2:TIDIG_COMP_CNT: 0
	.text
	.protected	_Z32comm_manual_aosoa_constants_permPK15HIP_vector_typeIfLj2EEPS0_S2_ ; -- Begin function _Z32comm_manual_aosoa_constants_permPK15HIP_vector_typeIfLj2EEPS0_S2_
	.globl	_Z32comm_manual_aosoa_constants_permPK15HIP_vector_typeIfLj2EEPS0_S2_
	.p2align	8
	.type	_Z32comm_manual_aosoa_constants_permPK15HIP_vector_typeIfLj2EEPS0_S2_,@function
_Z32comm_manual_aosoa_constants_permPK15HIP_vector_typeIfLj2EEPS0_S2_: ; @_Z32comm_manual_aosoa_constants_permPK15HIP_vector_typeIfLj2EEPS0_S2_
; %bb.0:
	s_load_b32 s2, s[0:1], 0x24
	s_bfe_u32 s3, ttmp6, 0x4000c
	s_and_b32 s4, ttmp6, 15
	s_add_co_i32 s3, s3, 1
	s_getreg_b32 s5, hwreg(HW_REG_IB_STS2, 6, 4)
	s_mul_i32 s3, ttmp9, s3
	s_mov_b64 s[22:23], 0xc4
	s_add_co_i32 s4, s4, s3
	s_mov_b64 s[24:25], 0xffffffffffffff3c
	s_mov_b32 s15, 0
	s_wait_kmcnt 0x0
	s_and_b32 s2, s2, 0xffff
	s_cmp_eq_u32 s5, 0
	s_cselect_b32 s3, ttmp9, s4
	s_clause 0x1
	s_load_b128 s[4:7], s[0:1], 0x0
	s_load_b64 s[20:21], s[0:1], 0x10
	v_mad_u32 v0, s3, s2, v0
	s_delay_alu instid0(VALU_DEP_1) | instskip(SKIP_2) | instid1(VALU_DEP_1)
	v_mul_lo_u32 v92, 0x62, v0
	s_wait_kmcnt 0x0
	s_add_nc_u64 s[26:27], s[4:5], 16
	v_mov_b32_e32 v72, v92
.LBB18_1:                               ; =>This Loop Header: Depth=1
                                        ;     Child Loop BB18_2 Depth 2
	v_mad_u32 v58, s15, 14, v92
	s_mov_b64 s[28:29], 0
	s_mov_b64 s[30:31], s[22:23]
	s_delay_alu instid0(VALU_DEP_2) | instskip(NEXT) | instid1(VALU_DEP_1)
	v_dual_ashrrev_i32 v73, 31, v72 :: v_dual_mov_b32 v93, v92
	v_lshl_add_u64 v[88:89], v[72:73], 4, s[26:27]
	s_delay_alu instid0(VALU_DEP_3)
	v_dual_add_nc_u32 v56, 2, v58 :: v_dual_add_nc_u32 v60, 4, v58
	v_dual_add_nc_u32 v62, 6, v58 :: v_dual_add_nc_u32 v64, 8, v58
	s_wait_xcnt 0xe
	v_dual_add_nc_u32 v66, 10, v58 :: v_dual_add_nc_u32 v68, 12, v58
	s_clause 0xd
	global_load_b128 v[20:23], v58, s[6:7] offset:16 scale_offset
	global_load_b128 v[0:3], v58, s[6:7] scale_offset
	global_load_b128 v[4:7], v56, s[6:7] offset:16 scale_offset
	global_load_b128 v[8:11], v56, s[6:7] scale_offset
	;; [unrolled: 2-line block ×7, first 2 shown]
	v_dual_ashrrev_i32 v59, 31, v58 :: v_dual_ashrrev_i32 v57, 31, v56
	v_dual_ashrrev_i32 v63, 31, v62 :: v_dual_ashrrev_i32 v61, 31, v60
	;; [unrolled: 1-line block ×3, first 2 shown]
	v_ashrrev_i32_e32 v69, 31, v68
	s_delay_alu instid0(VALU_DEP_4)
	v_lshl_add_u64 v[76:77], v[58:59], 4, s[6:7]
	v_lshl_add_u64 v[86:87], v[56:57], 4, s[6:7]
	;; [unrolled: 1-line block ×7, first 2 shown]
.LBB18_2:                               ;   Parent Loop BB18_1 Depth=1
                                        ; =>  This Inner Loop Header: Depth=2
	s_add_nc_u64 s[0:1], s[20:21], s[30:31]
	s_add_nc_u64 s[38:39], s[20:21], s[28:29]
	s_add_nc_u64 s[2:3], s[0:1], s[24:25]
	s_add_nc_u64 s[28:29], s[28:29], 28
	s_clause 0x1
	s_load_b32 s36, s[2:3], 0x0
	s_load_b32 s34, s[0:1], 0x0
	s_clause 0x1
	global_load_b128 v[56:59], v[88:89], off
	global_load_b128 v[60:63], v[88:89], off offset:-16
	s_clause 0x1
	global_load_b128 v[64:67], v93, s[4:5] offset:16 scale_offset
	global_load_b128 v[68:71], v93, s[4:5] scale_offset
	s_clause 0x3
	s_load_b128 s[0:3], s[38:39], 0x0
	s_load_b96 s[16:18], s[38:39], 0x10
	s_load_b96 s[12:14], s[38:39], 0xd4
	s_load_b128 s[8:11], s[38:39], 0xc4
	v_add_nc_u64_e32 v[88:89], 32, v[88:89]
	s_add_nc_u64 s[30:31], s[30:31], 4
	s_cmp_eq_u32 s28, 0xc4
	s_wait_kmcnt 0x0
	v_mov_b64_e32 v[94:95], s[0:1]
	v_mov_b64_e32 v[96:97], s[8:9]
	s_wait_loadcnt 0x3
	v_xor_b32_e32 v59, 0x80000000, v59
	s_wait_loadcnt 0x2
	v_xor_b32_e32 v91, 0x80000000, v63
	s_wait_loadcnt 0x1
	v_pk_fma_f32 v[0:1], s[36:37], v[64:65], v[0:1] op_sel_hi:[0,1,1]
	s_wait_loadcnt 0x0
	v_pk_fma_f32 v[22:23], s[36:37], v[70:71], v[22:23] op_sel_hi:[0,1,1] neg_lo:[1,0,0] neg_hi:[1,0,0]
	v_pk_fma_f32 v[20:21], s[36:37], v[68:69], v[20:21] op_sel_hi:[0,1,1] neg_lo:[1,0,0] neg_hi:[1,0,0]
	v_pk_fma_f32 v[2:3], s[36:37], v[66:67], v[2:3] op_sel_hi:[0,1,1]
	v_xor_b32_e32 v90, 0x80000000, v62
	v_pk_fma_f32 v[0:1], v[60:61], s[8:9], v[0:1] op_sel_hi:[1,0,1] neg_lo:[1,0,0] neg_hi:[1,0,0]
	v_pk_fma_f32 v[22:23], v[62:63], s[0:1], v[22:23] op_sel_hi:[1,0,1]
	v_pk_fma_f32 v[20:21], v[60:61], s[0:1], v[20:21] op_sel_hi:[1,0,1]
	v_xor_b32_e32 v58, 0x80000000, v58
	v_pk_fma_f32 v[2:3], v[90:91], s[8:9], v[2:3] op_sel_hi:[1,0,1]
	v_pk_fma_f32 v[0:1], s[34:35], v[68:69], v[0:1] op_sel_hi:[0,1,1]
	v_add_nc_u32_e32 v68, 2, v93
	v_pk_fma_f32 v[22:23], s[34:35], v[66:67], v[22:23] op_sel_hi:[0,1,1]
	v_pk_fma_f32 v[20:21], s[34:35], v[64:65], v[20:21] op_sel_hi:[0,1,1]
	;; [unrolled: 1-line block ×3, first 2 shown]
	s_clause 0x1
	global_load_b128 v[64:67], v68, s[4:5] offset:16 scale_offset
	global_load_b128 v[68:71], v68, s[4:5] scale_offset
	v_pk_fma_f32 v[0:1], v[56:57], s[0:1], v[0:1] op_sel_hi:[1,0,1] neg_lo:[1,0,0] neg_hi:[1,0,0]
	v_pk_fma_f32 v[22:23], v[58:59], s[8:9], v[22:23] op_sel_hi:[1,0,1]
	v_pk_fma_f32 v[2:3], v[58:59], s[0:1], v[2:3] op_sel_hi:[1,0,1]
	s_mov_b32 s0, s3
	v_pk_fma_f32 v[20:21], v[56:57], s[8:9], v[20:21] op_sel_hi:[1,0,1] neg_lo:[1,0,0] neg_hi:[1,0,0]
	s_wait_loadcnt 0x1
	v_pk_fma_f32 v[8:9], s[36:37], v[64:65], v[8:9] op_sel_hi:[0,1,1]
	s_wait_loadcnt 0x0
	v_pk_fma_f32 v[6:7], s[36:37], v[70:71], v[6:7] op_sel_hi:[0,1,1] neg_lo:[1,0,0] neg_hi:[1,0,0]
	v_pk_fma_f32 v[4:5], s[36:37], v[68:69], v[4:5] op_sel_hi:[0,1,1] neg_lo:[1,0,0] neg_hi:[1,0,0]
	v_pk_fma_f32 v[10:11], s[36:37], v[66:67], v[10:11] op_sel_hi:[0,1,1]
	v_pk_fma_f32 v[8:9], v[60:61], v[96:97], v[8:9] op_sel:[0,1,0] neg_lo:[1,0,0] neg_hi:[1,0,0]
	s_delay_alu instid0(VALU_DEP_4) | instskip(NEXT) | instid1(VALU_DEP_4)
	v_pk_fma_f32 v[6:7], v[62:63], v[94:95], v[6:7] op_sel:[0,1,0]
	v_pk_fma_f32 v[4:5], v[60:61], v[94:95], v[4:5] op_sel:[0,1,0]
	s_delay_alu instid0(VALU_DEP_4) | instskip(NEXT) | instid1(VALU_DEP_4)
	v_pk_fma_f32 v[10:11], v[90:91], v[96:97], v[10:11] op_sel:[0,1,0]
	v_pk_fma_f32 v[8:9], s[34:35], v[68:69], v[8:9] op_sel_hi:[0,1,1]
	s_wait_xcnt 0x0
	v_add_nc_u32_e32 v68, 4, v93
	v_pk_fma_f32 v[6:7], s[34:35], v[66:67], v[6:7] op_sel_hi:[0,1,1]
	v_pk_fma_f32 v[4:5], s[34:35], v[64:65], v[4:5] op_sel_hi:[0,1,1]
	;; [unrolled: 1-line block ×3, first 2 shown]
	s_clause 0x1
	global_load_b128 v[64:67], v68, s[4:5] offset:16 scale_offset
	global_load_b128 v[68:71], v68, s[4:5] scale_offset
	v_pk_fma_f32 v[6:7], v[58:59], v[96:97], v[6:7] op_sel:[0,1,0]
	v_pk_fma_f32 v[4:5], v[56:57], v[96:97], v[4:5] op_sel:[0,1,0] neg_lo:[1,0,0] neg_hi:[1,0,0]
	v_mov_b64_e32 v[96:97], s[12:13]
	v_pk_fma_f32 v[10:11], v[58:59], v[94:95], v[10:11] op_sel:[0,1,0]
	v_pk_fma_f32 v[8:9], v[56:57], v[94:95], v[8:9] op_sel:[0,1,0] neg_lo:[1,0,0] neg_hi:[1,0,0]
	v_mov_b64_e32 v[94:95], s[16:17]
	s_wait_loadcnt 0x1
	v_pk_fma_f32 v[16:17], s[36:37], v[64:65], v[16:17] op_sel_hi:[0,1,1]
	s_wait_loadcnt 0x0
	v_pk_fma_f32 v[14:15], s[36:37], v[70:71], v[14:15] op_sel_hi:[0,1,1] neg_lo:[1,0,0] neg_hi:[1,0,0]
	v_pk_fma_f32 v[12:13], s[36:37], v[68:69], v[12:13] op_sel_hi:[0,1,1] neg_lo:[1,0,0] neg_hi:[1,0,0]
	v_pk_fma_f32 v[18:19], s[36:37], v[66:67], v[18:19] op_sel_hi:[0,1,1]
	v_pk_fma_f32 v[16:17], v[60:61], s[10:11], v[16:17] op_sel_hi:[1,0,1] neg_lo:[1,0,0] neg_hi:[1,0,0]
	s_delay_alu instid0(VALU_DEP_4) | instskip(NEXT) | instid1(VALU_DEP_4)
	v_pk_fma_f32 v[14:15], v[62:63], s[2:3], v[14:15] op_sel_hi:[1,0,1]
	v_pk_fma_f32 v[12:13], v[60:61], s[2:3], v[12:13] op_sel_hi:[1,0,1]
	s_delay_alu instid0(VALU_DEP_4) | instskip(NEXT) | instid1(VALU_DEP_4)
	v_pk_fma_f32 v[18:19], v[90:91], s[10:11], v[18:19] op_sel_hi:[1,0,1]
	v_pk_fma_f32 v[16:17], s[34:35], v[68:69], v[16:17] op_sel_hi:[0,1,1]
	s_wait_xcnt 0x0
	v_add_nc_u32_e32 v68, 6, v93
	v_pk_fma_f32 v[14:15], s[34:35], v[66:67], v[14:15] op_sel_hi:[0,1,1]
	v_pk_fma_f32 v[12:13], s[34:35], v[64:65], v[12:13] op_sel_hi:[0,1,1]
	;; [unrolled: 1-line block ×3, first 2 shown]
	s_clause 0x1
	global_load_b128 v[64:67], v68, s[4:5] offset:16 scale_offset
	global_load_b128 v[68:71], v68, s[4:5] scale_offset
	v_pk_fma_f32 v[16:17], v[56:57], s[2:3], v[16:17] op_sel_hi:[1,0,1] neg_lo:[1,0,0] neg_hi:[1,0,0]
	v_pk_fma_f32 v[14:15], v[58:59], s[10:11], v[14:15] op_sel_hi:[1,0,1]
	v_pk_fma_f32 v[18:19], v[58:59], s[2:3], v[18:19] op_sel_hi:[1,0,1]
	s_mov_b32 s2, s11
	v_pk_fma_f32 v[12:13], v[56:57], s[10:11], v[12:13] op_sel_hi:[1,0,1] neg_lo:[1,0,0] neg_hi:[1,0,0]
	s_wait_loadcnt 0x1
	v_pk_fma_f32 v[28:29], s[36:37], v[64:65], v[28:29] op_sel_hi:[0,1,1]
	s_wait_loadcnt 0x0
	v_pk_fma_f32 v[26:27], s[36:37], v[70:71], v[26:27] op_sel_hi:[0,1,1] neg_lo:[1,0,0] neg_hi:[1,0,0]
	v_pk_fma_f32 v[24:25], s[36:37], v[68:69], v[24:25] op_sel_hi:[0,1,1] neg_lo:[1,0,0] neg_hi:[1,0,0]
	v_pk_fma_f32 v[30:31], s[36:37], v[66:67], v[30:31] op_sel_hi:[0,1,1]
	v_pk_fma_f32 v[28:29], v[60:61], s[2:3], v[28:29] op_sel_hi:[1,0,1] neg_lo:[1,0,0] neg_hi:[1,0,0]
	s_delay_alu instid0(VALU_DEP_4) | instskip(NEXT) | instid1(VALU_DEP_4)
	v_pk_fma_f32 v[26:27], v[62:63], s[0:1], v[26:27] op_sel_hi:[1,0,1]
	v_pk_fma_f32 v[24:25], v[60:61], s[0:1], v[24:25] op_sel_hi:[1,0,1]
	s_delay_alu instid0(VALU_DEP_4) | instskip(NEXT) | instid1(VALU_DEP_4)
	v_pk_fma_f32 v[30:31], v[90:91], s[2:3], v[30:31] op_sel_hi:[1,0,1]
	v_pk_fma_f32 v[28:29], s[34:35], v[68:69], v[28:29] op_sel_hi:[0,1,1]
	s_wait_xcnt 0x0
	v_add_nc_u32_e32 v68, 8, v93
	v_pk_fma_f32 v[26:27], s[34:35], v[66:67], v[26:27] op_sel_hi:[0,1,1]
	v_pk_fma_f32 v[24:25], s[34:35], v[64:65], v[24:25] op_sel_hi:[0,1,1]
	;; [unrolled: 1-line block ×3, first 2 shown]
	s_clause 0x1
	global_load_b128 v[64:67], v68, s[4:5] offset:16 scale_offset
	global_load_b128 v[68:71], v68, s[4:5] scale_offset
	v_pk_fma_f32 v[26:27], v[58:59], s[2:3], v[26:27] op_sel_hi:[1,0,1]
	v_pk_fma_f32 v[24:25], v[56:57], s[2:3], v[24:25] op_sel_hi:[1,0,1] neg_lo:[1,0,0] neg_hi:[1,0,0]
	v_pk_fma_f32 v[30:31], v[58:59], s[0:1], v[30:31] op_sel_hi:[1,0,1]
	v_pk_fma_f32 v[28:29], v[56:57], s[0:1], v[28:29] op_sel_hi:[1,0,1] neg_lo:[1,0,0] neg_hi:[1,0,0]
	s_mov_b32 s0, s18
	s_mov_b32 s2, s14
	s_wait_loadcnt 0x1
	v_pk_fma_f32 v[44:45], s[36:37], v[64:65], v[44:45] op_sel_hi:[0,1,1]
	s_wait_loadcnt 0x0
	v_pk_fma_f32 v[34:35], s[36:37], v[70:71], v[34:35] op_sel_hi:[0,1,1] neg_lo:[1,0,0] neg_hi:[1,0,0]
	v_pk_fma_f32 v[32:33], s[36:37], v[68:69], v[32:33] op_sel_hi:[0,1,1] neg_lo:[1,0,0] neg_hi:[1,0,0]
	v_pk_fma_f32 v[46:47], s[36:37], v[66:67], v[46:47] op_sel_hi:[0,1,1]
	v_pk_fma_f32 v[44:45], v[60:61], s[12:13], v[44:45] op_sel_hi:[1,0,1] neg_lo:[1,0,0] neg_hi:[1,0,0]
	s_delay_alu instid0(VALU_DEP_4) | instskip(NEXT) | instid1(VALU_DEP_4)
	v_pk_fma_f32 v[34:35], v[62:63], s[16:17], v[34:35] op_sel_hi:[1,0,1]
	v_pk_fma_f32 v[32:33], v[60:61], s[16:17], v[32:33] op_sel_hi:[1,0,1]
	s_delay_alu instid0(VALU_DEP_4) | instskip(NEXT) | instid1(VALU_DEP_4)
	v_pk_fma_f32 v[46:47], v[90:91], s[12:13], v[46:47] op_sel_hi:[1,0,1]
	v_pk_fma_f32 v[44:45], s[34:35], v[68:69], v[44:45] op_sel_hi:[0,1,1]
	s_wait_xcnt 0x0
	v_add_nc_u32_e32 v68, 10, v93
	v_pk_fma_f32 v[34:35], s[34:35], v[66:67], v[34:35] op_sel_hi:[0,1,1]
	v_pk_fma_f32 v[32:33], s[34:35], v[64:65], v[32:33] op_sel_hi:[0,1,1]
	;; [unrolled: 1-line block ×3, first 2 shown]
	s_clause 0x1
	global_load_b128 v[64:67], v68, s[4:5] offset:16 scale_offset
	global_load_b128 v[68:71], v68, s[4:5] scale_offset
	v_pk_fma_f32 v[34:35], v[58:59], s[12:13], v[34:35] op_sel_hi:[1,0,1]
	v_pk_fma_f32 v[32:33], v[56:57], s[12:13], v[32:33] op_sel_hi:[1,0,1] neg_lo:[1,0,0] neg_hi:[1,0,0]
	v_pk_fma_f32 v[46:47], v[58:59], s[16:17], v[46:47] op_sel_hi:[1,0,1]
	v_pk_fma_f32 v[44:45], v[56:57], s[16:17], v[44:45] op_sel_hi:[1,0,1] neg_lo:[1,0,0] neg_hi:[1,0,0]
	s_wait_loadcnt 0x1
	v_pk_fma_f32 v[40:41], s[36:37], v[64:65], v[40:41] op_sel_hi:[0,1,1]
	s_wait_loadcnt 0x0
	v_pk_fma_f32 v[38:39], s[36:37], v[70:71], v[38:39] op_sel_hi:[0,1,1] neg_lo:[1,0,0] neg_hi:[1,0,0]
	v_pk_fma_f32 v[36:37], s[36:37], v[68:69], v[36:37] op_sel_hi:[0,1,1] neg_lo:[1,0,0] neg_hi:[1,0,0]
	v_pk_fma_f32 v[42:43], s[36:37], v[66:67], v[42:43] op_sel_hi:[0,1,1]
	v_pk_fma_f32 v[40:41], v[60:61], v[96:97], v[40:41] op_sel:[0,1,0] neg_lo:[1,0,0] neg_hi:[1,0,0]
	s_delay_alu instid0(VALU_DEP_4) | instskip(NEXT) | instid1(VALU_DEP_4)
	v_pk_fma_f32 v[38:39], v[62:63], v[94:95], v[38:39] op_sel:[0,1,0]
	v_pk_fma_f32 v[36:37], v[60:61], v[94:95], v[36:37] op_sel:[0,1,0]
	s_delay_alu instid0(VALU_DEP_4) | instskip(NEXT) | instid1(VALU_DEP_4)
	v_pk_fma_f32 v[42:43], v[90:91], v[96:97], v[42:43] op_sel:[0,1,0]
	v_pk_fma_f32 v[40:41], s[34:35], v[68:69], v[40:41] op_sel_hi:[0,1,1]
	s_wait_xcnt 0x0
	v_add_nc_u32_e32 v68, 12, v93
	v_pk_fma_f32 v[38:39], s[34:35], v[66:67], v[38:39] op_sel_hi:[0,1,1]
	v_pk_fma_f32 v[36:37], s[34:35], v[64:65], v[36:37] op_sel_hi:[0,1,1]
	;; [unrolled: 1-line block ×3, first 2 shown]
	s_clause 0x1
	global_load_b128 v[64:67], v68, s[4:5] offset:16 scale_offset
	global_load_b128 v[68:71], v68, s[4:5] scale_offset
	v_pk_fma_f32 v[38:39], v[58:59], v[96:97], v[38:39] op_sel:[0,1,0]
	v_pk_fma_f32 v[36:37], v[56:57], v[96:97], v[36:37] op_sel:[0,1,0] neg_lo:[1,0,0] neg_hi:[1,0,0]
	v_pk_fma_f32 v[42:43], v[58:59], v[94:95], v[42:43] op_sel:[0,1,0]
	v_pk_fma_f32 v[40:41], v[56:57], v[94:95], v[40:41] op_sel:[0,1,0] neg_lo:[1,0,0] neg_hi:[1,0,0]
	v_add_nc_u32_e32 v93, 14, v93
	s_wait_loadcnt 0x1
	v_pk_fma_f32 v[48:49], s[36:37], v[64:65], v[48:49] op_sel_hi:[0,1,1]
	s_wait_loadcnt 0x0
	v_pk_fma_f32 v[54:55], s[36:37], v[70:71], v[54:55] op_sel_hi:[0,1,1] neg_lo:[1,0,0] neg_hi:[1,0,0]
	v_pk_fma_f32 v[52:53], s[36:37], v[68:69], v[52:53] op_sel_hi:[0,1,1] neg_lo:[1,0,0] neg_hi:[1,0,0]
	v_pk_fma_f32 v[50:51], s[36:37], v[66:67], v[50:51] op_sel_hi:[0,1,1]
	v_pk_fma_f32 v[48:49], v[60:61], s[2:3], v[48:49] op_sel_hi:[1,0,1] neg_lo:[1,0,0] neg_hi:[1,0,0]
	s_delay_alu instid0(VALU_DEP_4) | instskip(NEXT) | instid1(VALU_DEP_4)
	v_pk_fma_f32 v[54:55], v[62:63], s[0:1], v[54:55] op_sel_hi:[1,0,1]
	v_pk_fma_f32 v[52:53], v[60:61], s[0:1], v[52:53] op_sel_hi:[1,0,1]
	s_delay_alu instid0(VALU_DEP_4) | instskip(NEXT) | instid1(VALU_DEP_4)
	v_pk_fma_f32 v[50:51], v[90:91], s[2:3], v[50:51] op_sel_hi:[1,0,1]
	v_pk_fma_f32 v[48:49], s[34:35], v[68:69], v[48:49] op_sel_hi:[0,1,1]
	;; [unrolled: 3-line block ×3, first 2 shown]
	s_delay_alu instid0(VALU_DEP_4) | instskip(NEXT) | instid1(VALU_DEP_4)
	v_pk_fma_f32 v[50:51], s[34:35], v[70:71], v[50:51] op_sel_hi:[0,1,1]
	v_pk_fma_f32 v[48:49], v[56:57], s[0:1], v[48:49] op_sel_hi:[1,0,1] neg_lo:[1,0,0] neg_hi:[1,0,0]
	s_delay_alu instid0(VALU_DEP_4) | instskip(NEXT) | instid1(VALU_DEP_4)
	v_pk_fma_f32 v[54:55], v[58:59], s[2:3], v[54:55] op_sel_hi:[1,0,1]
	v_pk_fma_f32 v[52:53], v[56:57], s[2:3], v[52:53] op_sel_hi:[1,0,1] neg_lo:[1,0,0] neg_hi:[1,0,0]
	s_delay_alu instid0(VALU_DEP_4)
	v_pk_fma_f32 v[50:51], v[58:59], s[0:1], v[50:51] op_sel_hi:[1,0,1]
	s_cbranch_scc0 .LBB18_2
; %bb.3:                                ;   in Loop: Header=BB18_1 Depth=1
	v_add_nc_u32_e32 v72, 14, v72
	s_add_co_i32 s15, s15, 1
	s_add_nc_u64 s[22:23], s[22:23], 28
	s_cmp_eq_u32 s15, 7
	s_clause 0xd
	global_store_b128 v[76:77], v[0:3], off
	global_store_b128 v[76:77], v[20:23], off offset:16
	global_store_b128 v[86:87], v[8:11], off
	global_store_b128 v[86:87], v[4:7], off offset:16
	;; [unrolled: 2-line block ×7, first 2 shown]
	s_cbranch_scc0 .LBB18_1
; %bb.4:
	s_sendmsg sendmsg(MSG_DEALLOC_VGPRS)
	s_endpgm
	.section	.rodata,"a",@progbits
	.p2align	6, 0x0
	.amdhsa_kernel _Z32comm_manual_aosoa_constants_permPK15HIP_vector_typeIfLj2EEPS0_S2_
		.amdhsa_group_segment_fixed_size 0
		.amdhsa_private_segment_fixed_size 0
		.amdhsa_kernarg_size 280
		.amdhsa_user_sgpr_count 2
		.amdhsa_user_sgpr_dispatch_ptr 0
		.amdhsa_user_sgpr_queue_ptr 0
		.amdhsa_user_sgpr_kernarg_segment_ptr 1
		.amdhsa_user_sgpr_dispatch_id 0
		.amdhsa_user_sgpr_kernarg_preload_length 0
		.amdhsa_user_sgpr_kernarg_preload_offset 0
		.amdhsa_user_sgpr_private_segment_size 0
		.amdhsa_wavefront_size32 1
		.amdhsa_uses_dynamic_stack 0
		.amdhsa_enable_private_segment 0
		.amdhsa_system_sgpr_workgroup_id_x 1
		.amdhsa_system_sgpr_workgroup_id_y 0
		.amdhsa_system_sgpr_workgroup_id_z 0
		.amdhsa_system_sgpr_workgroup_info 0
		.amdhsa_system_vgpr_workitem_id 0
		.amdhsa_next_free_vgpr 98
		.amdhsa_next_free_sgpr 40
		.amdhsa_named_barrier_count 0
		.amdhsa_reserve_vcc 0
		.amdhsa_float_round_mode_32 0
		.amdhsa_float_round_mode_16_64 0
		.amdhsa_float_denorm_mode_32 3
		.amdhsa_float_denorm_mode_16_64 3
		.amdhsa_fp16_overflow 0
		.amdhsa_memory_ordered 1
		.amdhsa_forward_progress 1
		.amdhsa_inst_pref_size 17
		.amdhsa_round_robin_scheduling 0
		.amdhsa_exception_fp_ieee_invalid_op 0
		.amdhsa_exception_fp_denorm_src 0
		.amdhsa_exception_fp_ieee_div_zero 0
		.amdhsa_exception_fp_ieee_overflow 0
		.amdhsa_exception_fp_ieee_underflow 0
		.amdhsa_exception_fp_ieee_inexact 0
		.amdhsa_exception_int_div_zero 0
	.end_amdhsa_kernel
	.text
.Lfunc_end18:
	.size	_Z32comm_manual_aosoa_constants_permPK15HIP_vector_typeIfLj2EEPS0_S2_, .Lfunc_end18-_Z32comm_manual_aosoa_constants_permPK15HIP_vector_typeIfLj2EEPS0_S2_
                                        ; -- End function
	.set _Z32comm_manual_aosoa_constants_permPK15HIP_vector_typeIfLj2EEPS0_S2_.num_vgpr, 98
	.set _Z32comm_manual_aosoa_constants_permPK15HIP_vector_typeIfLj2EEPS0_S2_.num_agpr, 0
	.set _Z32comm_manual_aosoa_constants_permPK15HIP_vector_typeIfLj2EEPS0_S2_.numbered_sgpr, 40
	.set _Z32comm_manual_aosoa_constants_permPK15HIP_vector_typeIfLj2EEPS0_S2_.num_named_barrier, 0
	.set _Z32comm_manual_aosoa_constants_permPK15HIP_vector_typeIfLj2EEPS0_S2_.private_seg_size, 0
	.set _Z32comm_manual_aosoa_constants_permPK15HIP_vector_typeIfLj2EEPS0_S2_.uses_vcc, 0
	.set _Z32comm_manual_aosoa_constants_permPK15HIP_vector_typeIfLj2EEPS0_S2_.uses_flat_scratch, 0
	.set _Z32comm_manual_aosoa_constants_permPK15HIP_vector_typeIfLj2EEPS0_S2_.has_dyn_sized_stack, 0
	.set _Z32comm_manual_aosoa_constants_permPK15HIP_vector_typeIfLj2EEPS0_S2_.has_recursion, 0
	.set _Z32comm_manual_aosoa_constants_permPK15HIP_vector_typeIfLj2EEPS0_S2_.has_indirect_call, 0
	.section	.AMDGPU.csdata,"",@progbits
; Kernel info:
; codeLenInByte = 2144
; TotalNumSgprs: 40
; NumVgprs: 98
; ScratchSize: 0
; MemoryBound: 1
; FloatMode: 240
; IeeeMode: 1
; LDSByteSize: 0 bytes/workgroup (compile time only)
; SGPRBlocks: 0
; VGPRBlocks: 6
; NumSGPRsForWavesPerEU: 40
; NumVGPRsForWavesPerEU: 98
; NamedBarCnt: 0
; Occupancy: 9
; WaveLimiterHint : 1
; COMPUTE_PGM_RSRC2:SCRATCH_EN: 0
; COMPUTE_PGM_RSRC2:USER_SGPR: 2
; COMPUTE_PGM_RSRC2:TRAP_HANDLER: 0
; COMPUTE_PGM_RSRC2:TGID_X_EN: 1
; COMPUTE_PGM_RSRC2:TGID_Y_EN: 0
; COMPUTE_PGM_RSRC2:TGID_Z_EN: 0
; COMPUTE_PGM_RSRC2:TIDIG_COMP_CNT: 0
	.text
	.protected	_Z41comm_manual_aosoa_constants_perm_prefetchPK15HIP_vector_typeIfLj2EEPS0_S2_ ; -- Begin function _Z41comm_manual_aosoa_constants_perm_prefetchPK15HIP_vector_typeIfLj2EEPS0_S2_
	.globl	_Z41comm_manual_aosoa_constants_perm_prefetchPK15HIP_vector_typeIfLj2EEPS0_S2_
	.p2align	8
	.type	_Z41comm_manual_aosoa_constants_perm_prefetchPK15HIP_vector_typeIfLj2EEPS0_S2_,@function
_Z41comm_manual_aosoa_constants_perm_prefetchPK15HIP_vector_typeIfLj2EEPS0_S2_: ; @_Z41comm_manual_aosoa_constants_perm_prefetchPK15HIP_vector_typeIfLj2EEPS0_S2_
; %bb.0:
	s_load_b32 s2, s[0:1], 0x24
	s_bfe_u32 s3, ttmp6, 0x4000c
	s_and_b32 s4, ttmp6, 15
	s_add_co_i32 s3, s3, 1
	s_getreg_b32 s5, hwreg(HW_REG_IB_STS2, 6, 4)
	s_mul_i32 s3, ttmp9, s3
	s_mov_b32 s23, 0
	s_add_co_i32 s4, s4, s3
	s_mov_b32 s33, 0
	s_mov_b32 s71, 0
	s_load_b64 s[20:21], s[0:1], 0x10
	s_wait_kmcnt 0x0
	s_and_b32 s2, s2, 0xffff
	s_cmp_eq_u32 s5, 0
	s_cselect_b32 s3, ttmp9, s4
	s_load_b128 s[4:7], s[0:1], 0x0
	v_mad_u32 v0, s3, s2, v0
	s_delay_alu instid0(VALU_DEP_1) | instskip(NEXT) | instid1(VALU_DEP_1)
	v_mul_lo_u32 v64, 0x62, v0
	v_ashrrev_i32_e32 v65, 31, v64
	s_wait_kmcnt 0x0
	s_delay_alu instid0(VALU_DEP_1) | instskip(SKIP_1) | instid1(VALU_DEP_2)
	v_lshl_add_u64 v[0:1], v[64:65], 4, s[4:5]
	v_add_nc_u32_e32 v65, 0x54, v64
	v_add_nc_u64_e32 v[66:67], 16, v[0:1]
.LBB19_1:                               ; =>This Loop Header: Depth=1
                                        ;     Child Loop BB19_2 Depth 2
	s_mul_i32 s22, s71, 7
	v_mad_u32 v24, s71, 14, v64
	s_lshl_b32 s0, s22, 1
	s_delay_alu instid0(VALU_DEP_2)
	v_mov_b64_e32 v[68:69], v[66:67]
	v_add3_u32 v25, s0, 2, v64
	v_add3_u32 v32, s0, 6, v64
	s_wait_xcnt 0x1
	v_add3_u32 v56, s0, 8, v64
	v_add3_u32 v26, s0, 4, v64
	;; [unrolled: 1-line block ×4, first 2 shown]
	s_clause 0xd
	global_load_b128 v[0:3], v25, s[4:5] offset:16 scale_offset
	global_load_b128 v[4:7], v25, s[4:5] scale_offset
	global_load_b128 v[8:11], v26, s[4:5] offset:16 scale_offset
	global_load_b128 v[12:15], v26, s[4:5] scale_offset
	;; [unrolled: 2-line block ×7, first 2 shown]
	s_lshl_b64 s[0:1], s[22:23], 2
	v_mov_b32_e32 v90, v65
	s_add_nc_u64 s[24:25], s[20:21], s[0:1]
	s_clause 0x3
	s_load_b128 s[0:3], s[24:25], 0x0
	s_load_b128 s[8:11], s[24:25], 0xc4
	s_load_b96 s[12:14], s[24:25], 0xd4
	s_load_b96 s[16:18], s[24:25], 0x10
	s_mov_b64 s[66:67], 0
	s_wait_kmcnt 0x0
	s_wait_xcnt 0x0
	s_mov_b32 s24, s0
	s_mov_b32 s25, s0
	;; [unrolled: 1-line block ×48, first 2 shown]
.LBB19_2:                               ;   Parent Loop BB19_1 Depth=1
                                        ; =>  This Inner Loop Header: Depth=2
	s_clause 0x1
	global_load_b128 v[56:59], v[68:69], off
	global_load_b128 v[60:63], v[68:69], off offset:-16
	s_add_nc_u64 s[68:69], s[20:21], s[66:67]
	s_clause 0x1
	s_load_b32 s70, s[68:69], 0xc4
	s_load_b32 s22, s[68:69], 0xa8
	v_mov_b64_e32 v[72:73], s[26:27]
	v_mov_b64_e32 v[86:87], s[24:25]
	s_clause 0x5
	s_load_b32 s76, s[68:69], 0x0
	s_load_b32 s80, s[68:69], 0x1c
	s_load_b32 s82, s[68:69], 0x38
	s_load_b32 s78, s[68:69], 0x54
	s_load_b32 s74, s[68:69], 0x70
	s_load_b32 s72, s[68:69], 0x8c
	s_wait_loadcnt 0xa
	v_xor_b32_e32 v83, 0x80000000, v23
	v_xor_b32_e32 v82, 0x80000000, v22
	v_mov_b64_e32 v[70:71], s[30:31]
	v_mov_b64_e32 v[74:75], s[28:29]
	v_add_nc_u32_e32 v91, 0xffffffba, v90
	v_xor_b32_e32 v79, 0x80000000, v19
	v_xor_b32_e32 v78, 0x80000000, v18
	v_mov_b64_e32 v[84:85], s[34:35]
	v_mov_b64_e32 v[80:81], s[0:1]
	;; [unrolled: 1-line block ×3, first 2 shown]
	v_xor_b32_e32 v77, 0x80000000, v7
	v_xor_b32_e32 v76, 0x80000000, v6
	v_mov_b64_e32 v[88:89], s[8:9]
	v_subrev_nc_u32_e32 v100, 56, v90
	v_xor_b32_e32 v99, 0x80000000, v3
	v_xor_b32_e32 v98, 0x80000000, v2
	v_add_nc_u64_e32 v[68:69], 32, v[68:69]
	s_add_nc_u64 s[66:67], s[66:67], 4
	s_delay_alu instid0(SALU_CYCLE_1)
	s_cmp_lg_u32 s66, 28
	s_wait_loadcnt 0x1
	v_pk_fma_f32 v[92:93], v[72:73], v[58:59], 0 op_sel_hi:[1,1,0]
	v_pk_fma_f32 v[94:95], v[86:87], v[56:57], 0 op_sel_hi:[1,1,0]
	s_wait_loadcnt 0x0
	v_pk_fma_f32 v[86:87], v[60:61], v[86:87], 0 op_sel_hi:[1,1,0] neg_lo:[1,0,0] neg_hi:[1,0,0]
	s_wait_kmcnt 0x0
	v_pk_fma_f32 v[82:83], v[82:83], s[70:71], v[92:93] op_sel_hi:[1,0,1]
	v_xor_b32_e32 v93, 0x80000000, v63
	v_xor_b32_e32 v92, 0x80000000, v62
	v_pk_fma_f32 v[94:95], v[20:21], s[70:71], v[94:95] op_sel_hi:[1,0,1] neg_lo:[1,0,0] neg_hi:[1,0,0]
	s_delay_alu instid0(VALU_DEP_4) | instskip(SKIP_1) | instid1(VALU_DEP_3)
	v_pk_fma_f32 v[82:83], v[62:63], v[70:71], v[82:83]
	v_pk_fma_f32 v[62:63], v[20:21], s[76:77], v[86:87] op_sel_hi:[1,0,1]
	v_pk_fma_f32 v[94:95], v[60:61], v[74:75], v[94:95]
	v_pk_fma_f32 v[60:61], v[92:93], v[72:73], 0 op_sel_hi:[1,1,0]
	s_delay_alu instid0(VALU_DEP_4) | instskip(NEXT) | instid1(VALU_DEP_4)
	v_pk_fma_f32 v[82:83], s[76:77], v[18:19], v[82:83] op_sel_hi:[0,1,1] neg_lo:[1,0,0] neg_hi:[1,0,0]
	v_pk_fma_f32 v[72:73], v[56:57], v[74:75], v[62:63]
	v_mov_b64_e32 v[74:75], s[40:41]
	v_pk_fma_f32 v[86:87], s[76:77], v[16:17], v[94:95] op_sel_hi:[0,1,1] neg_lo:[1,0,0] neg_hi:[1,0,0]
	v_pk_fma_f32 v[56:57], v[22:23], s[76:77], v[60:61] op_sel_hi:[1,0,1]
	v_xor_b32_e32 v93, 0x80000000, v11
	v_pk_fma_f32 v[72:73], v[16:17], s[70:71], v[72:73] op_sel_hi:[1,0,1] neg_lo:[1,0,0] neg_hi:[1,0,0]
	v_xor_b32_e32 v92, 0x80000000, v10
	v_mov_b64_e32 v[94:95], s[2:3]
	v_pk_fma_f32 v[70:71], v[58:59], v[70:71], v[56:57]
	s_clause 0x1
	global_load_b128 v[56:59], v91, s[4:5] scale_offset
	global_load_b128 v[60:63], v91, s[4:5] offset:16 scale_offset
	s_wait_xcnt 0x0
	v_subrev_nc_u32_e32 v91, 42, v90
	v_pk_fma_f32 v[70:71], v[78:79], s[70:71], v[70:71] op_sel_hi:[1,0,1]
	s_clause 0x4
	s_load_b32 s84, s[68:69], 0xe0
	s_load_b32 s86, s[68:69], 0xfc
	;; [unrolled: 1-line block ×5, first 2 shown]
	s_wait_xcnt 0x0
	s_load_b32 s68, s[68:69], 0x16c
	s_wait_loadcnt 0x1
	v_pk_fma_f32 v[72:73], v[56:57], v[84:85], v[72:73] neg_lo:[1,0,0] neg_hi:[1,0,0]
	s_wait_loadcnt 0x0
	v_pk_fma_f32 v[84:85], v[84:85], v[60:61], v[86:87]
	v_xor_b32_e32 v79, 0x80000000, v59
	v_xor_b32_e32 v78, 0x80000000, v58
	v_mov_b64_e32 v[86:87], s[44:45]
	s_wait_kmcnt 0x0
	v_pk_fma_f32 v[84:85], v[4:5], s[84:85], v[84:85] op_sel_hi:[1,0,1] neg_lo:[1,0,0] neg_hi:[1,0,0]
	s_delay_alu instid0(VALU_DEP_3) | instskip(SKIP_2) | instid1(VALU_DEP_4)
	v_pk_fma_f32 v[70:71], v[78:79], v[80:81], v[70:71]
	v_pk_fma_f32 v[80:81], v[80:81], v[62:63], v[82:83]
	v_mov_b64_e32 v[78:79], s[38:39]
	v_pk_fma_f32 v[84:85], v[56:57], v[96:97], v[84:85]
	v_pk_fma_f32 v[56:57], v[4:5], s[80:81], v[72:73] op_sel_hi:[1,0,1]
	v_xor_b32_e32 v83, 0x80000000, v15
	v_pk_fma_f32 v[76:77], v[76:77], s[84:85], v[80:81] op_sel_hi:[1,0,1]
	v_mov_b64_e32 v[80:81], s[42:43]
	v_pk_fma_f32 v[84:85], s[80:81], v[0:1], v[84:85] op_sel_hi:[0,1,1] neg_lo:[1,0,0] neg_hi:[1,0,0]
	v_pk_fma_f32 v[72:73], v[60:61], v[96:97], v[56:57]
	v_pk_fma_f32 v[56:57], v[6:7], s[80:81], v[70:71] op_sel_hi:[1,0,1]
	v_pk_fma_f32 v[76:77], v[58:59], v[88:89], v[76:77]
	v_xor_b32_e32 v82, 0x80000000, v14
	v_xor_b32_e32 v97, 0x80000000, v27
	v_pk_fma_f32 v[72:73], v[0:1], s[84:85], v[72:73] op_sel_hi:[1,0,1] neg_lo:[1,0,0] neg_hi:[1,0,0]
	v_pk_fma_f32 v[70:71], v[62:63], v[88:89], v[56:57]
	s_clause 0x1
	global_load_b128 v[56:59], v100, s[4:5] scale_offset
	global_load_b128 v[60:63], v100, s[4:5] offset:16 scale_offset
	v_pk_fma_f32 v[76:77], s[80:81], v[2:3], v[76:77] op_sel_hi:[0,1,1] neg_lo:[1,0,0] neg_hi:[1,0,0]
	v_xor_b32_e32 v96, 0x80000000, v26
	v_pk_fma_f32 v[70:71], v[98:99], s[84:85], v[70:71] op_sel_hi:[1,0,1]
	v_subrev_nc_u32_e32 v98, 28, v90
	s_wait_loadcnt 0x1
	v_xor_b32_e32 v89, 0x80000000, v59
	s_wait_loadcnt 0x0
	v_pk_fma_f32 v[84:85], v[78:79], v[60:61], v[84:85]
	v_xor_b32_e32 v88, 0x80000000, v58
	v_pk_fma_f32 v[72:73], v[56:57], v[78:79], v[72:73] neg_lo:[1,0,0] neg_hi:[1,0,0]
	v_mov_b64_e32 v[78:79], s[10:11]
	s_delay_alu instid0(VALU_DEP_4) | instskip(NEXT) | instid1(VALU_DEP_4)
	v_pk_fma_f32 v[84:85], v[12:13], s[86:87], v[84:85] op_sel_hi:[1,0,1] neg_lo:[1,0,0] neg_hi:[1,0,0]
	v_pk_fma_f32 v[70:71], v[88:89], v[74:75], v[70:71]
	v_pk_fma_f32 v[74:75], v[74:75], v[62:63], v[76:77]
	v_mov_b64_e32 v[88:89], s[46:47]
	v_xor_b32_e32 v77, 0x80000000, v31
	v_pk_fma_f32 v[84:85], v[56:57], v[80:81], v[84:85]
	v_pk_fma_f32 v[56:57], v[12:13], s[82:83], v[72:73] op_sel_hi:[1,0,1]
	v_pk_fma_f32 v[74:75], v[82:83], s[86:87], v[74:75] op_sel_hi:[1,0,1]
	v_mov_b64_e32 v[82:83], s[48:49]
	v_xor_b32_e32 v76, 0x80000000, v30
	v_pk_fma_f32 v[84:85], s[82:83], v[8:9], v[84:85] op_sel_hi:[0,1,1] neg_lo:[1,0,0] neg_hi:[1,0,0]
	v_pk_fma_f32 v[72:73], v[60:61], v[80:81], v[56:57]
	v_pk_fma_f32 v[56:57], v[14:15], s[82:83], v[70:71] op_sel_hi:[1,0,1]
	v_pk_fma_f32 v[74:75], v[58:59], v[86:87], v[74:75]
	v_mov_b64_e32 v[80:81], s[52:53]
	s_delay_alu instid0(VALU_DEP_4) | instskip(NEXT) | instid1(VALU_DEP_4)
	v_pk_fma_f32 v[72:73], v[8:9], s[86:87], v[72:73] op_sel_hi:[1,0,1] neg_lo:[1,0,0] neg_hi:[1,0,0]
	v_pk_fma_f32 v[70:71], v[62:63], v[86:87], v[56:57]
	s_clause 0x1
	global_load_b128 v[56:59], v91, s[4:5] scale_offset
	global_load_b128 v[60:63], v91, s[4:5] offset:16 scale_offset
	v_pk_fma_f32 v[74:75], s[82:83], v[10:11], v[74:75] op_sel_hi:[0,1,1] neg_lo:[1,0,0] neg_hi:[1,0,0]
	s_wait_xcnt 0x0
	v_add_nc_u32_e32 v91, -14, v90
	v_pk_fma_f32 v[70:71], v[92:93], s[86:87], v[70:71] op_sel_hi:[1,0,1]
	v_xor_b32_e32 v93, 0x80000000, v39
	v_xor_b32_e32 v92, 0x80000000, v38
	s_wait_loadcnt 0x1
	v_xor_b32_e32 v87, 0x80000000, v59
	s_wait_loadcnt 0x0
	v_pk_fma_f32 v[84:85], v[88:89], v[60:61], v[84:85]
	v_xor_b32_e32 v86, 0x80000000, v58
	v_pk_fma_f32 v[72:73], v[56:57], v[88:89], v[72:73] neg_lo:[1,0,0] neg_hi:[1,0,0]
	v_pk_fma_f32 v[74:75], v[94:95], v[62:63], v[74:75]
	v_mov_b64_e32 v[88:89], s[56:57]
	v_pk_fma_f32 v[84:85], v[28:29], s[88:89], v[84:85] op_sel_hi:[1,0,1] neg_lo:[1,0,0] neg_hi:[1,0,0]
	v_pk_fma_f32 v[70:71], v[86:87], v[94:95], v[70:71]
	v_mov_b64_e32 v[86:87], s[50:51]
	v_pk_fma_f32 v[74:75], v[76:77], s[88:89], v[74:75] op_sel_hi:[1,0,1]
	v_mov_b64_e32 v[76:77], s[54:55]
	v_pk_fma_f32 v[84:85], v[56:57], v[82:83], v[84:85]
	v_pk_fma_f32 v[56:57], v[28:29], s[78:79], v[72:73] op_sel_hi:[1,0,1]
	v_xor_b32_e32 v95, 0x80000000, v35
	v_pk_fma_f32 v[74:75], v[58:59], v[78:79], v[74:75]
	v_xor_b32_e32 v94, 0x80000000, v34
	s_delay_alu instid0(VALU_DEP_4) | instskip(SKIP_2) | instid1(VALU_DEP_3)
	v_pk_fma_f32 v[72:73], v[60:61], v[82:83], v[56:57]
	v_pk_fma_f32 v[56:57], v[30:31], s[78:79], v[70:71] op_sel_hi:[1,0,1]
	v_mov_b64_e32 v[82:83], s[16:17]
	v_pk_fma_f32 v[72:73], v[24:25], s[88:89], v[72:73] op_sel_hi:[1,0,1] neg_lo:[1,0,0] neg_hi:[1,0,0]
	s_delay_alu instid0(VALU_DEP_3)
	v_pk_fma_f32 v[70:71], v[62:63], v[78:79], v[56:57]
	s_clause 0x1
	global_load_b128 v[56:59], v98, s[4:5] scale_offset
	global_load_b128 v[60:63], v98, s[4:5] offset:16 scale_offset
	v_pk_fma_f32 v[70:71], v[96:97], s[88:89], v[70:71] op_sel_hi:[1,0,1]
	v_mov_b64_e32 v[96:97], s[58:59]
	s_wait_loadcnt 0x1
	v_xor_b32_e32 v79, 0x80000000, v59
	v_xor_b32_e32 v78, 0x80000000, v58
	s_delay_alu instid0(VALU_DEP_1) | instskip(SKIP_3) | instid1(VALU_DEP_4)
	v_pk_fma_f32 v[78:79], v[78:79], v[80:81], v[70:71]
	v_pk_fma_f32 v[70:71], s[78:79], v[26:27], v[74:75] op_sel_hi:[0,1,1] neg_lo:[1,0,0] neg_hi:[1,0,0]
	v_pk_fma_f32 v[74:75], s[78:79], v[24:25], v[84:85] op_sel_hi:[0,1,1] neg_lo:[1,0,0] neg_hi:[1,0,0]
	v_pk_fma_f32 v[84:85], v[56:57], v[86:87], v[72:73] neg_lo:[1,0,0] neg_hi:[1,0,0]
	v_pk_fma_f32 v[78:79], v[38:39], s[74:75], v[78:79] op_sel_hi:[1,0,1]
	s_wait_loadcnt 0x0
	v_pk_fma_f32 v[70:71], v[80:81], v[62:63], v[70:71]
	v_pk_fma_f32 v[74:75], v[86:87], v[60:61], v[74:75]
	v_xor_b32_e32 v81, 0x80000000, v47
	v_xor_b32_e32 v80, 0x80000000, v46
	s_delay_alu instid0(VALU_DEP_4) | instskip(SKIP_3) | instid1(VALU_DEP_2)
	v_pk_fma_f32 v[86:87], v[92:93], s[76:77], v[70:71] op_sel_hi:[1,0,1]
	global_load_b128 v[70:73], v91, s[4:5] scale_offset
	v_pk_fma_f32 v[74:75], v[36:37], s[76:77], v[74:75] op_sel_hi:[1,0,1] neg_lo:[1,0,0] neg_hi:[1,0,0]
	v_pk_fma_f32 v[86:87], v[58:59], v[88:89], v[86:87]
	v_pk_fma_f32 v[92:93], v[56:57], v[76:77], v[74:75]
	global_load_b128 v[56:59], v91, s[4:5] offset:16 scale_offset
	v_pk_fma_f32 v[74:75], v[36:37], s[74:75], v[84:85] op_sel_hi:[1,0,1]
	s_wait_xcnt 0x0
	v_add3_u32 v91, s33, v90, 0xffffffac
	s_delay_alu instid0(VALU_DEP_2)
	v_pk_fma_f32 v[84:85], v[60:61], v[76:77], v[74:75]
	v_pk_fma_f32 v[74:75], v[62:63], v[88:89], v[78:79]
	global_load_b128 v[60:63], v90, s[4:5] scale_offset
	v_pk_fma_f32 v[78:79], s[74:75], v[34:35], v[86:87] op_sel_hi:[0,1,1] neg_lo:[1,0,0] neg_hi:[1,0,0]
	v_pk_fma_f32 v[86:87], s[74:75], v[32:33], v[92:93] op_sel_hi:[0,1,1] neg_lo:[1,0,0] neg_hi:[1,0,0]
	v_mov_b64_e32 v[88:89], s[12:13]
	v_pk_fma_f32 v[74:75], v[94:95], s[76:77], v[74:75] op_sel_hi:[1,0,1]
	v_pk_fma_f32 v[84:85], v[32:33], s[76:77], v[84:85] op_sel_hi:[1,0,1] neg_lo:[1,0,0] neg_hi:[1,0,0]
	s_wait_loadcnt 0x2
	v_xor_b32_e32 v77, 0x80000000, v73
	v_xor_b32_e32 v76, 0x80000000, v72
	s_delay_alu instid0(VALU_DEP_3) | instskip(NEXT) | instid1(VALU_DEP_2)
	v_pk_fma_f32 v[84:85], v[70:71], v[96:97], v[84:85] neg_lo:[1,0,0] neg_hi:[1,0,0]
	v_pk_fma_f32 v[94:95], v[76:77], v[82:83], v[74:75]
	global_load_b128 v[74:77], v90, s[4:5] offset:16 scale_offset
	s_wait_loadcnt 0x2
	v_pk_fma_f32 v[78:79], v[82:83], v[58:59], v[78:79]
	v_pk_fma_f32 v[86:87], v[96:97], v[56:57], v[86:87]
	v_mov_b64_e32 v[82:83], s[60:61]
	v_pk_fma_f32 v[84:85], v[44:45], s[72:73], v[84:85] op_sel_hi:[1,0,1]
	s_wait_xcnt 0x0
	v_add_nc_u32_e32 v90, 2, v90
	v_pk_fma_f32 v[92:93], v[80:81], s[70:71], v[78:79] op_sel_hi:[1,0,1]
	v_pk_fma_f32 v[86:87], v[44:45], s[70:71], v[86:87] op_sel_hi:[1,0,1] neg_lo:[1,0,0] neg_hi:[1,0,0]
	global_load_b128 v[78:81], v91, s[6:7] scale_offset
	v_pk_fma_f32 v[56:57], v[56:57], v[82:83], v[84:85]
	v_pk_fma_f32 v[92:93], v[72:73], v[88:89], v[92:93]
	;; [unrolled: 1-line block ×3, first 2 shown]
	global_load_b128 v[70:73], v91, s[6:7] offset:16 scale_offset
	v_pk_fma_f32 v[84:85], v[46:47], s[72:73], v[94:95] op_sel_hi:[1,0,1]
	v_xor_b32_e32 v83, 0x80000000, v43
	v_xor_b32_e32 v82, 0x80000000, v42
	v_pk_fma_f32 v[92:93], s[72:73], v[42:43], v[92:93] op_sel_hi:[0,1,1] neg_lo:[1,0,0] neg_hi:[1,0,0]
	v_pk_fma_f32 v[86:87], s[72:73], v[40:41], v[86:87] op_sel_hi:[0,1,1] neg_lo:[1,0,0] neg_hi:[1,0,0]
	v_pk_fma_f32 v[58:59], v[58:59], v[88:89], v[84:85]
	v_mov_b64_e32 v[84:85], s[18:19]
	v_mov_b64_e32 v[88:89], s[62:63]
	v_pk_fma_f32 v[56:57], v[40:41], s[70:71], v[56:57] op_sel_hi:[1,0,1] neg_lo:[1,0,0] neg_hi:[1,0,0]
	v_xor_b32_e32 v95, 0x80000000, v55
	v_pk_fma_f32 v[58:59], v[82:83], s[70:71], v[58:59] op_sel_hi:[1,0,1]
	s_wait_loadcnt 0x3
	v_xor_b32_e32 v83, 0x80000000, v63
	v_xor_b32_e32 v82, 0x80000000, v62
	;; [unrolled: 1-line block ×3, first 2 shown]
	v_pk_fma_f32 v[56:57], v[60:61], v[88:89], v[56:57] neg_lo:[1,0,0] neg_hi:[1,0,0]
	s_delay_alu instid0(VALU_DEP_3) | instskip(SKIP_1) | instid1(VALU_DEP_3)
	v_pk_fma_f32 v[58:59], v[82:83], v[84:85], v[58:59]
	v_mov_b64_e32 v[82:83], s[14:15]
	v_pk_fma_f32 v[56:57], v[52:53], s[22:23], v[56:57] op_sel_hi:[1,0,1]
	s_delay_alu instid0(VALU_DEP_3)
	v_pk_fma_f32 v[58:59], v[54:55], s[22:23], v[58:59] op_sel_hi:[1,0,1]
	s_wait_loadcnt 0x2
	v_pk_fma_f32 v[84:85], v[84:85], v[76:77], v[92:93]
	v_pk_fma_f32 v[86:87], v[88:89], v[74:75], v[86:87]
	v_mov_b64_e32 v[92:93], s[64:65]
	v_xor_b32_e32 v89, 0x80000000, v51
	v_xor_b32_e32 v88, 0x80000000, v50
	v_pk_fma_f32 v[84:85], v[94:95], s[68:69], v[84:85] op_sel_hi:[1,0,1]
	v_pk_fma_f32 v[86:87], v[52:53], s[68:69], v[86:87] op_sel_hi:[1,0,1] neg_lo:[1,0,0] neg_hi:[1,0,0]
	v_pk_fma_f32 v[58:59], v[76:77], v[82:83], v[58:59]
	v_pk_fma_f32 v[56:57], v[74:75], v[92:93], v[56:57]
	s_delay_alu instid0(VALU_DEP_4) | instskip(NEXT) | instid1(VALU_DEP_4)
	v_pk_fma_f32 v[62:63], v[62:63], v[82:83], v[84:85]
	v_pk_fma_f32 v[60:61], v[60:61], v[92:93], v[86:87]
	s_delay_alu instid0(VALU_DEP_4) | instskip(NEXT) | instid1(VALU_DEP_4)
	v_pk_fma_f32 v[76:77], v[88:89], s[68:69], v[58:59] op_sel_hi:[1,0,1]
	v_pk_fma_f32 v[74:75], v[48:49], s[68:69], v[56:57] op_sel_hi:[1,0,1] neg_lo:[1,0,0] neg_hi:[1,0,0]
	s_delay_alu instid0(VALU_DEP_4) | instskip(NEXT) | instid1(VALU_DEP_4)
	v_pk_fma_f32 v[62:63], s[22:23], v[50:51], v[62:63] op_sel_hi:[0,1,1] neg_lo:[1,0,0] neg_hi:[1,0,0]
	v_pk_fma_f32 v[60:61], s[22:23], v[48:49], v[60:61] op_sel_hi:[0,1,1] neg_lo:[1,0,0] neg_hi:[1,0,0]
	s_wait_loadcnt 0x1
	s_delay_alu instid0(VALU_DEP_2) | instskip(NEXT) | instid1(VALU_DEP_2)
	v_pk_add_f32 v[58:59], v[62:63], v[80:81]
	v_pk_add_f32 v[56:57], v[60:61], v[78:79]
	s_wait_loadcnt 0x0
	v_pk_add_f32 v[60:61], v[74:75], v[70:71]
	v_pk_add_f32 v[62:63], v[76:77], v[72:73]
	s_clause 0x1
	global_store_b128 v91, v[56:59], s[6:7] scale_offset
	global_store_b128 v91, v[60:63], s[6:7] offset:16 scale_offset
	s_cbranch_scc1 .LBB19_2
; %bb.3:                                ;   in Loop: Header=BB19_1 Depth=1
	s_add_co_i32 s71, s71, 1
	s_add_co_i32 s33, s33, 14
	s_cmp_eq_u32 s71, 7
	s_cbranch_scc0 .LBB19_1
; %bb.4:
	s_sendmsg sendmsg(MSG_DEALLOC_VGPRS)
	s_endpgm
	.section	.rodata,"a",@progbits
	.p2align	6, 0x0
	.amdhsa_kernel _Z41comm_manual_aosoa_constants_perm_prefetchPK15HIP_vector_typeIfLj2EEPS0_S2_
		.amdhsa_group_segment_fixed_size 0
		.amdhsa_private_segment_fixed_size 0
		.amdhsa_kernarg_size 280
		.amdhsa_user_sgpr_count 2
		.amdhsa_user_sgpr_dispatch_ptr 0
		.amdhsa_user_sgpr_queue_ptr 0
		.amdhsa_user_sgpr_kernarg_segment_ptr 1
		.amdhsa_user_sgpr_dispatch_id 0
		.amdhsa_user_sgpr_kernarg_preload_length 0
		.amdhsa_user_sgpr_kernarg_preload_offset 0
		.amdhsa_user_sgpr_private_segment_size 0
		.amdhsa_wavefront_size32 1
		.amdhsa_uses_dynamic_stack 0
		.amdhsa_enable_private_segment 0
		.amdhsa_system_sgpr_workgroup_id_x 1
		.amdhsa_system_sgpr_workgroup_id_y 0
		.amdhsa_system_sgpr_workgroup_id_z 0
		.amdhsa_system_sgpr_workgroup_info 0
		.amdhsa_system_vgpr_workitem_id 0
		.amdhsa_next_free_vgpr 101
		.amdhsa_next_free_sgpr 90
		.amdhsa_named_barrier_count 0
		.amdhsa_reserve_vcc 0
		.amdhsa_float_round_mode_32 0
		.amdhsa_float_round_mode_16_64 0
		.amdhsa_float_denorm_mode_32 3
		.amdhsa_float_denorm_mode_16_64 3
		.amdhsa_fp16_overflow 0
		.amdhsa_memory_ordered 1
		.amdhsa_forward_progress 1
		.amdhsa_inst_pref_size 21
		.amdhsa_round_robin_scheduling 0
		.amdhsa_exception_fp_ieee_invalid_op 0
		.amdhsa_exception_fp_denorm_src 0
		.amdhsa_exception_fp_ieee_div_zero 0
		.amdhsa_exception_fp_ieee_overflow 0
		.amdhsa_exception_fp_ieee_underflow 0
		.amdhsa_exception_fp_ieee_inexact 0
		.amdhsa_exception_int_div_zero 0
	.end_amdhsa_kernel
	.text
.Lfunc_end19:
	.size	_Z41comm_manual_aosoa_constants_perm_prefetchPK15HIP_vector_typeIfLj2EEPS0_S2_, .Lfunc_end19-_Z41comm_manual_aosoa_constants_perm_prefetchPK15HIP_vector_typeIfLj2EEPS0_S2_
                                        ; -- End function
	.set _Z41comm_manual_aosoa_constants_perm_prefetchPK15HIP_vector_typeIfLj2EEPS0_S2_.num_vgpr, 101
	.set _Z41comm_manual_aosoa_constants_perm_prefetchPK15HIP_vector_typeIfLj2EEPS0_S2_.num_agpr, 0
	.set _Z41comm_manual_aosoa_constants_perm_prefetchPK15HIP_vector_typeIfLj2EEPS0_S2_.numbered_sgpr, 90
	.set _Z41comm_manual_aosoa_constants_perm_prefetchPK15HIP_vector_typeIfLj2EEPS0_S2_.num_named_barrier, 0
	.set _Z41comm_manual_aosoa_constants_perm_prefetchPK15HIP_vector_typeIfLj2EEPS0_S2_.private_seg_size, 0
	.set _Z41comm_manual_aosoa_constants_perm_prefetchPK15HIP_vector_typeIfLj2EEPS0_S2_.uses_vcc, 0
	.set _Z41comm_manual_aosoa_constants_perm_prefetchPK15HIP_vector_typeIfLj2EEPS0_S2_.uses_flat_scratch, 0
	.set _Z41comm_manual_aosoa_constants_perm_prefetchPK15HIP_vector_typeIfLj2EEPS0_S2_.has_dyn_sized_stack, 0
	.set _Z41comm_manual_aosoa_constants_perm_prefetchPK15HIP_vector_typeIfLj2EEPS0_S2_.has_recursion, 0
	.set _Z41comm_manual_aosoa_constants_perm_prefetchPK15HIP_vector_typeIfLj2EEPS0_S2_.has_indirect_call, 0
	.section	.AMDGPU.csdata,"",@progbits
; Kernel info:
; codeLenInByte = 2632
; TotalNumSgprs: 90
; NumVgprs: 101
; ScratchSize: 0
; MemoryBound: 1
; FloatMode: 240
; IeeeMode: 1
; LDSByteSize: 0 bytes/workgroup (compile time only)
; SGPRBlocks: 0
; VGPRBlocks: 6
; NumSGPRsForWavesPerEU: 90
; NumVGPRsForWavesPerEU: 101
; NamedBarCnt: 0
; Occupancy: 9
; WaveLimiterHint : 1
; COMPUTE_PGM_RSRC2:SCRATCH_EN: 0
; COMPUTE_PGM_RSRC2:USER_SGPR: 2
; COMPUTE_PGM_RSRC2:TRAP_HANDLER: 0
; COMPUTE_PGM_RSRC2:TGID_X_EN: 1
; COMPUTE_PGM_RSRC2:TGID_Y_EN: 0
; COMPUTE_PGM_RSRC2:TGID_Z_EN: 0
; COMPUTE_PGM_RSRC2:TIDIG_COMP_CNT: 0
	.text
	.protected	_Z24comm_manual_aosoa_directPK15HIP_vector_typeIfLj2EEPS0_S2_i ; -- Begin function _Z24comm_manual_aosoa_directPK15HIP_vector_typeIfLj2EEPS0_S2_i
	.globl	_Z24comm_manual_aosoa_directPK15HIP_vector_typeIfLj2EEPS0_S2_i
	.p2align	8
	.type	_Z24comm_manual_aosoa_directPK15HIP_vector_typeIfLj2EEPS0_S2_i,@function
_Z24comm_manual_aosoa_directPK15HIP_vector_typeIfLj2EEPS0_S2_i: ; @_Z24comm_manual_aosoa_directPK15HIP_vector_typeIfLj2EEPS0_S2_i
; %bb.0:
	s_load_b32 s4, s[0:1], 0x18
	s_wait_kmcnt 0x0
	s_cmp_lt_i32 s4, 1
	s_cbranch_scc1 .LBB20_7
; %bb.1:
	s_load_b32 s2, s[0:1], 0x2c
	s_bfe_u32 s3, ttmp6, 0x4000c
	s_and_b32 s5, ttmp6, 15
	s_add_co_i32 s3, s3, 1
	s_getreg_b32 s6, hwreg(HW_REG_IB_STS2, 6, 4)
	s_mul_i32 s3, ttmp9, s3
	s_mul_i32 s20, s4, s4
	s_add_co_i32 s5, s5, s3
	s_mov_b32 s22, s20
	s_wait_kmcnt 0x0
	s_and_b32 s2, s2, 0xffff
	s_cmp_eq_u32 s6, 0
	s_load_b64 s[6:7], s[0:1], 0x10
	s_cselect_b32 s3, ttmp9, s5
	s_mov_b32 s5, 0
	v_mad_u32 v0, s3, s2, v0
	s_wait_xcnt 0x0
	s_load_b128 s[0:3], s[0:1], 0x0
	s_lshl_b64 s[8:9], s[4:5], 2
	s_lshl_b32 s21, s4, 1
	s_delay_alu instid0(VALU_DEP_1) | instskip(SKIP_3) | instid1(VALU_DEP_2)
	v_mul_lo_u32 v1, s4, v0
	v_mul_lo_u32 v0, s20, v0
	s_wait_kmcnt 0x0
	s_mov_b64 s[10:11], s[6:7]
	v_mul_lo_u32 v10, v1, s4
	s_delay_alu instid0(VALU_DEP_2) | instskip(NEXT) | instid1(VALU_DEP_1)
	v_lshlrev_b32_e32 v11, 1, v0
	v_mov_b32_e32 v12, v11
.LBB20_2:                               ; =>This Loop Header: Depth=1
                                        ;     Child Loop BB20_3 Depth 2
                                        ;       Child Loop BB20_4 Depth 3
	s_delay_alu instid0(VALU_DEP_3)
	v_mad_u32 v13, s5, s4, v10
	v_mov_b32_e32 v14, v11
	s_mov_b64 s[12:13], s[6:7]
	s_mov_b32 s23, s20
	s_mov_b32 s24, 0
.LBB20_3:                               ;   Parent Loop BB20_2 Depth=1
                                        ; =>  This Loop Header: Depth=2
                                        ;       Child Loop BB20_4 Depth 3
	s_wait_xcnt 0x0
	s_delay_alu instid0(VALU_DEP_2)
	v_add_lshl_u32 v8, v13, s24, 1
	v_mov_b32_e32 v16, v14
	s_mov_b32 s25, 0
	s_mov_b64 s[14:15], s[10:11]
	s_mov_b64 s[16:17], s[12:13]
	s_clause 0x1
	global_load_b128 v[0:3], v8, s[2:3] offset:16 scale_offset
	global_load_b128 v[4:7], v8, s[2:3] scale_offset
	v_dual_ashrrev_i32 v9, 31, v8 :: v_dual_mov_b32 v15, v12
	s_mov_b32 s18, s23
	s_wait_xcnt 0x0
	s_delay_alu instid0(VALU_DEP_1)
	v_lshl_add_u64 v[8:9], v[8:9], 4, s[2:3]
.LBB20_4:                               ;   Parent Loop BB20_2 Depth=1
                                        ;     Parent Loop BB20_3 Depth=2
                                        ; =>    This Inner Loop Header: Depth=3
	s_clause 0x3
	global_load_b128 v[18:21], v16, s[0:1] scale_offset
	global_load_b128 v[22:25], v16, s[0:1] offset:16 scale_offset
	global_load_b128 v[26:29], v15, s[0:1] scale_offset
	global_load_b128 v[30:33], v15, s[0:1] offset:16 scale_offset
	s_ashr_i32 s19, s18, 31
	s_load_b32 s26, s[14:15], 0x0
	s_load_b32 s28, s[16:17], 0x0
	s_lshl_b64 s[30:31], s[18:19], 2
	s_add_co_i32 s27, s22, s25
	s_add_nc_u64 s[30:31], s[6:7], s[30:31]
	s_load_b32 s34, s[6:7], s27 offset:0x0 scale_offset
	v_dual_add_nc_u32 v16, s21, v16 :: v_dual_add_nc_u32 v15, 2, v15
	s_load_b32 s30, s[30:31], 0x0
	s_add_co_i32 s25, s25, 1
	s_add_co_i32 s18, s18, s4
	s_wait_xcnt 0x0
	s_add_nc_u64 s[16:17], s[16:17], s[8:9]
	s_cmp_eq_u32 s4, s25
	s_add_nc_u64 s[14:15], s[14:15], 4
	s_wait_loadcnt 0x3
	v_xor_b32_e32 v35, 0x80000000, v21
	v_xor_b32_e32 v34, 0x80000000, v20
	s_wait_kmcnt 0x0
	v_pk_fma_f32 v[0:1], v[18:19], s[26:27], v[0:1] op_sel_hi:[1,0,1] neg_lo:[1,0,0] neg_hi:[1,0,0]
	s_wait_loadcnt 0x2
	v_pk_fma_f32 v[6:7], s[26:27], v[24:25], v[6:7] op_sel_hi:[0,1,1]
	s_wait_loadcnt 0x1
	v_xor_b32_e32 v37, 0x80000000, v29
	v_xor_b32_e32 v36, 0x80000000, v28
	v_pk_fma_f32 v[4:5], s[26:27], v[22:23], v[4:5] op_sel_hi:[0,1,1]
	v_pk_fma_f32 v[2:3], v[34:35], s[26:27], v[2:3] op_sel_hi:[1,0,1]
	v_pk_fma_f32 v[0:1], v[26:27], s[28:29], v[0:1] op_sel_hi:[1,0,1]
	s_wait_loadcnt 0x0
	v_xor_b32_e32 v35, 0x80000000, v33
	v_pk_fma_f32 v[6:7], v[36:37], s[30:31], v[6:7] op_sel_hi:[1,0,1]
	v_pk_fma_f32 v[4:5], v[26:27], s[30:31], v[4:5] op_sel_hi:[1,0,1] neg_lo:[1,0,0] neg_hi:[1,0,0]
	v_pk_fma_f32 v[2:3], v[28:29], s[28:29], v[2:3] op_sel_hi:[1,0,1]
	v_xor_b32_e32 v34, 0x80000000, v32
	v_pk_fma_f32 v[0:1], v[22:23], s[34:35], v[0:1] op_sel_hi:[1,0,1]
	v_pk_fma_f32 v[6:7], v[20:21], s[34:35], v[6:7] op_sel_hi:[1,0,1]
	;; [unrolled: 1-line block ×4, first 2 shown]
	s_delay_alu instid0(VALU_DEP_4) | instskip(NEXT) | instid1(VALU_DEP_4)
	v_pk_fma_f32 v[0:1], v[30:31], s[30:31], v[0:1] op_sel_hi:[1,0,1] neg_lo:[1,0,0] neg_hi:[1,0,0]
	v_pk_fma_f32 v[6:7], s[28:29], v[32:33], v[6:7] op_sel_hi:[0,1,1] neg_lo:[1,0,0] neg_hi:[1,0,0]
	s_delay_alu instid0(VALU_DEP_4) | instskip(NEXT) | instid1(VALU_DEP_4)
	v_pk_fma_f32 v[4:5], s[28:29], v[30:31], v[4:5] op_sel_hi:[0,1,1] neg_lo:[1,0,0] neg_hi:[1,0,0]
	v_pk_fma_f32 v[2:3], v[34:35], s[30:31], v[2:3] op_sel_hi:[1,0,1]
	s_cbranch_scc0 .LBB20_4
; %bb.5:                                ;   in Loop: Header=BB20_3 Depth=2
	v_add_nc_u32_e32 v14, 2, v14
	s_add_co_i32 s24, s24, 1
	s_add_co_i32 s23, s23, 1
	s_add_nc_u64 s[12:13], s[12:13], 4
	s_cmp_eq_u32 s24, s4
	s_clause 0x1
	global_store_b128 v[8:9], v[0:3], off offset:16
	global_store_b128 v[8:9], v[4:7], off
	s_cbranch_scc0 .LBB20_3
; %bb.6:                                ;   in Loop: Header=BB20_2 Depth=1
	v_add_nc_u32_e32 v12, s21, v12
	s_add_co_i32 s5, s5, 1
	s_add_co_i32 s22, s22, s4
	s_cmp_eq_u32 s5, s4
	s_add_nc_u64 s[10:11], s[10:11], s[8:9]
	s_cbranch_scc0 .LBB20_2
.LBB20_7:
	s_endpgm
	.section	.rodata,"a",@progbits
	.p2align	6, 0x0
	.amdhsa_kernel _Z24comm_manual_aosoa_directPK15HIP_vector_typeIfLj2EEPS0_S2_i
		.amdhsa_group_segment_fixed_size 0
		.amdhsa_private_segment_fixed_size 0
		.amdhsa_kernarg_size 288
		.amdhsa_user_sgpr_count 2
		.amdhsa_user_sgpr_dispatch_ptr 0
		.amdhsa_user_sgpr_queue_ptr 0
		.amdhsa_user_sgpr_kernarg_segment_ptr 1
		.amdhsa_user_sgpr_dispatch_id 0
		.amdhsa_user_sgpr_kernarg_preload_length 0
		.amdhsa_user_sgpr_kernarg_preload_offset 0
		.amdhsa_user_sgpr_private_segment_size 0
		.amdhsa_wavefront_size32 1
		.amdhsa_uses_dynamic_stack 0
		.amdhsa_enable_private_segment 0
		.amdhsa_system_sgpr_workgroup_id_x 1
		.amdhsa_system_sgpr_workgroup_id_y 0
		.amdhsa_system_sgpr_workgroup_id_z 0
		.amdhsa_system_sgpr_workgroup_info 0
		.amdhsa_system_vgpr_workitem_id 0
		.amdhsa_next_free_vgpr 38
		.amdhsa_next_free_sgpr 36
		.amdhsa_named_barrier_count 0
		.amdhsa_reserve_vcc 0
		.amdhsa_float_round_mode_32 0
		.amdhsa_float_round_mode_16_64 0
		.amdhsa_float_denorm_mode_32 3
		.amdhsa_float_denorm_mode_16_64 3
		.amdhsa_fp16_overflow 0
		.amdhsa_memory_ordered 1
		.amdhsa_forward_progress 1
		.amdhsa_inst_pref_size 6
		.amdhsa_round_robin_scheduling 0
		.amdhsa_exception_fp_ieee_invalid_op 0
		.amdhsa_exception_fp_denorm_src 0
		.amdhsa_exception_fp_ieee_div_zero 0
		.amdhsa_exception_fp_ieee_overflow 0
		.amdhsa_exception_fp_ieee_underflow 0
		.amdhsa_exception_fp_ieee_inexact 0
		.amdhsa_exception_int_div_zero 0
	.end_amdhsa_kernel
	.text
.Lfunc_end20:
	.size	_Z24comm_manual_aosoa_directPK15HIP_vector_typeIfLj2EEPS0_S2_i, .Lfunc_end20-_Z24comm_manual_aosoa_directPK15HIP_vector_typeIfLj2EEPS0_S2_i
                                        ; -- End function
	.set _Z24comm_manual_aosoa_directPK15HIP_vector_typeIfLj2EEPS0_S2_i.num_vgpr, 38
	.set _Z24comm_manual_aosoa_directPK15HIP_vector_typeIfLj2EEPS0_S2_i.num_agpr, 0
	.set _Z24comm_manual_aosoa_directPK15HIP_vector_typeIfLj2EEPS0_S2_i.numbered_sgpr, 36
	.set _Z24comm_manual_aosoa_directPK15HIP_vector_typeIfLj2EEPS0_S2_i.num_named_barrier, 0
	.set _Z24comm_manual_aosoa_directPK15HIP_vector_typeIfLj2EEPS0_S2_i.private_seg_size, 0
	.set _Z24comm_manual_aosoa_directPK15HIP_vector_typeIfLj2EEPS0_S2_i.uses_vcc, 0
	.set _Z24comm_manual_aosoa_directPK15HIP_vector_typeIfLj2EEPS0_S2_i.uses_flat_scratch, 0
	.set _Z24comm_manual_aosoa_directPK15HIP_vector_typeIfLj2EEPS0_S2_i.has_dyn_sized_stack, 0
	.set _Z24comm_manual_aosoa_directPK15HIP_vector_typeIfLj2EEPS0_S2_i.has_recursion, 0
	.set _Z24comm_manual_aosoa_directPK15HIP_vector_typeIfLj2EEPS0_S2_i.has_indirect_call, 0
	.section	.AMDGPU.csdata,"",@progbits
; Kernel info:
; codeLenInByte = 716
; TotalNumSgprs: 36
; NumVgprs: 38
; ScratchSize: 0
; MemoryBound: 1
; FloatMode: 240
; IeeeMode: 1
; LDSByteSize: 0 bytes/workgroup (compile time only)
; SGPRBlocks: 0
; VGPRBlocks: 2
; NumSGPRsForWavesPerEU: 36
; NumVGPRsForWavesPerEU: 38
; NamedBarCnt: 0
; Occupancy: 16
; WaveLimiterHint : 0
; COMPUTE_PGM_RSRC2:SCRATCH_EN: 0
; COMPUTE_PGM_RSRC2:USER_SGPR: 2
; COMPUTE_PGM_RSRC2:TRAP_HANDLER: 0
; COMPUTE_PGM_RSRC2:TGID_X_EN: 1
; COMPUTE_PGM_RSRC2:TGID_Y_EN: 0
; COMPUTE_PGM_RSRC2:TGID_Z_EN: 0
; COMPUTE_PGM_RSRC2:TIDIG_COMP_CNT: 0
	.text
	.protected	_Z34comm_manual_aosoa_constants_directPK15HIP_vector_typeIfLj2EEPS0_S2_ ; -- Begin function _Z34comm_manual_aosoa_constants_directPK15HIP_vector_typeIfLj2EEPS0_S2_
	.globl	_Z34comm_manual_aosoa_constants_directPK15HIP_vector_typeIfLj2EEPS0_S2_
	.p2align	8
	.type	_Z34comm_manual_aosoa_constants_directPK15HIP_vector_typeIfLj2EEPS0_S2_,@function
_Z34comm_manual_aosoa_constants_directPK15HIP_vector_typeIfLj2EEPS0_S2_: ; @_Z34comm_manual_aosoa_constants_directPK15HIP_vector_typeIfLj2EEPS0_S2_
; %bb.0:
	s_load_b32 s2, s[0:1], 0x24
	s_bfe_u32 s3, ttmp6, 0x4000c
	s_and_b32 s4, ttmp6, 15
	s_add_co_i32 s3, s3, 1
	s_getreg_b32 s5, hwreg(HW_REG_IB_STS2, 6, 4)
	s_mul_i32 s3, ttmp9, s3
	s_mov_b32 s23, 0
	s_add_co_i32 s4, s4, s3
	s_mov_b32 s33, 0
	s_load_b64 s[20:21], s[0:1], 0x10
	s_wait_kmcnt 0x0
	s_and_b32 s2, s2, 0xffff
	s_cmp_eq_u32 s5, 0
	s_cselect_b32 s3, ttmp9, s4
	s_load_b128 s[4:7], s[0:1], 0x0
	v_mad_u32 v0, s3, s2, v0
	s_delay_alu instid0(VALU_DEP_1) | instskip(SKIP_2) | instid1(VALU_DEP_1)
	v_mul_lo_u32 v72, 0x62, v0
	s_wait_kmcnt 0x0
	s_add_nc_u64 s[6:7], s[6:7], 16
	v_dual_mov_b32 v76, v72 :: v_dual_ashrrev_i32 v73, 31, v72
	s_delay_alu instid0(VALU_DEP_1) | instskip(SKIP_1) | instid1(VALU_DEP_2)
	v_lshl_add_u64 v[0:1], v[72:73], 4, s[4:5]
	v_add_nc_u32_e32 v73, 0x54, v72
	v_add_nc_u64_e32 v[74:75], 16, v[0:1]
.LBB21_1:                               ; =>This Loop Header: Depth=1
                                        ;     Child Loop BB21_2 Depth 2
	s_mul_i32 s22, s33, 7
	v_mad_u32 v24, s33, 14, v72
	s_lshl_b32 s0, s22, 1
	v_ashrrev_i32_e32 v77, 31, v76
	v_add3_u32 v25, s0, 2, v72
	v_add3_u32 v32, s0, 6, v72
	;; [unrolled: 1-line block ×6, first 2 shown]
	s_clause 0xd
	global_load_b128 v[0:3], v25, s[4:5] offset:16 scale_offset
	global_load_b128 v[4:7], v25, s[4:5] scale_offset
	global_load_b128 v[8:11], v26, s[4:5] offset:16 scale_offset
	global_load_b128 v[12:15], v26, s[4:5] scale_offset
	;; [unrolled: 2-line block ×7, first 2 shown]
	s_lshl_b64 s[0:1], s[22:23], 2
	v_mov_b64_e32 v[80:81], v[74:75]
	s_add_nc_u64 s[24:25], s[20:21], s[0:1]
	s_clause 0x3
	s_load_b128 s[0:3], s[24:25], 0x0
	s_load_b128 s[8:11], s[24:25], 0xc4
	s_load_b96 s[12:14], s[24:25], 0xd4
	s_load_b96 s[16:18], s[24:25], 0x10
	v_lshl_add_u64 v[78:79], v[76:77], 4, s[6:7]
	v_mov_b32_e32 v77, v73
	s_mov_b64 s[66:67], 0
	s_wait_kmcnt 0x0
	s_wait_xcnt 0x0
	s_mov_b32 s24, s0
	s_mov_b32 s25, s0
	;; [unrolled: 1-line block ×48, first 2 shown]
.LBB21_2:                               ;   Parent Loop BB21_1 Depth=1
                                        ; =>  This Inner Loop Header: Depth=2
	global_load_b128 v[56:59], v[80:81], off offset:-16
	s_clause 0x1
	global_load_b128 v[68:71], v[78:79], off
	global_load_b128 v[64:67], v[78:79], off offset:-16
	global_load_b128 v[60:63], v[80:81], off
	s_add_nc_u64 s[68:69], s[20:21], s[66:67]
	s_clause 0x1
	s_load_b32 s22, s[68:69], 0xc4
	s_load_b32 s70, s[68:69], 0xa8
	v_mov_b64_e32 v[86:87], s[26:27]
	v_mov_b64_e32 v[84:85], s[24:25]
	s_clause 0x5
	s_load_b32 s74, s[68:69], 0x0
	s_load_b32 s82, s[68:69], 0x1c
	;; [unrolled: 1-line block ×6, first 2 shown]
	v_mov_b64_e32 v[90:91], s[28:29]
	s_wait_loadcnt 0xc
	v_xor_b32_e32 v83, 0x80000000, v23
	v_xor_b32_e32 v82, 0x80000000, v22
	v_mov_b64_e32 v[88:89], s[30:31]
	v_add_nc_u32_e32 v100, 0xffffffba, v77
	v_xor_b32_e32 v93, 0x80000000, v19
	v_xor_b32_e32 v92, 0x80000000, v18
	v_mov_b64_e32 v[96:97], s[36:37]
	v_subrev_nc_u32_e32 v101, 56, v77
	v_xor_b32_e32 v99, 0x80000000, v3
	v_xor_b32_e32 v98, 0x80000000, v2
	v_add_nc_u64_e32 v[80:81], 32, v[80:81]
	s_add_nc_u64 s[66:67], s[66:67], 4
	s_delay_alu instid0(SALU_CYCLE_1) | instskip(SKIP_4) | instid1(VALU_DEP_1)
	s_cmp_lg_u32 s66, 28
	s_wait_loadcnt 0x3
	v_xor_b32_e32 v95, 0x80000000, v59
	v_xor_b32_e32 v94, 0x80000000, v58
	s_wait_loadcnt 0x2
	v_pk_fma_f32 v[70:71], v[94:95], v[86:87], v[70:71]
	v_pk_fma_f32 v[94:95], v[56:57], v[84:85], v[68:69] neg_lo:[1,0,0] neg_hi:[1,0,0]
	s_wait_loadcnt 0x0
	v_pk_fma_f32 v[84:85], v[84:85], v[60:61], v[64:65]
	v_pk_fma_f32 v[86:87], v[86:87], v[62:63], v[66:67]
	v_mov_b64_e32 v[66:67], s[34:35]
	v_mov_b64_e32 v[68:69], s[0:1]
	v_xor_b32_e32 v65, 0x80000000, v7
	s_wait_kmcnt 0x0
	v_pk_fma_f32 v[84:85], v[20:21], s[22:23], v[84:85] op_sel_hi:[1,0,1] neg_lo:[1,0,0] neg_hi:[1,0,0]
	v_pk_fma_f32 v[82:83], v[82:83], s[22:23], v[86:87] op_sel_hi:[1,0,1]
	v_xor_b32_e32 v64, 0x80000000, v6
	v_mov_b64_e32 v[86:87], s[8:9]
	s_delay_alu instid0(VALU_DEP_4)
	v_pk_fma_f32 v[84:85], v[56:57], v[90:91], v[84:85]
	v_pk_fma_f32 v[56:57], v[20:21], s[74:75], v[94:95] op_sel_hi:[1,0,1]
	v_pk_fma_f32 v[82:83], v[58:59], v[88:89], v[82:83]
	v_xor_b32_e32 v95, 0x80000000, v11
	v_xor_b32_e32 v94, 0x80000000, v10
	v_pk_fma_f32 v[84:85], s[74:75], v[16:17], v[84:85] op_sel_hi:[0,1,1] neg_lo:[1,0,0] neg_hi:[1,0,0]
	v_pk_fma_f32 v[90:91], v[60:61], v[90:91], v[56:57]
	v_pk_fma_f32 v[56:57], v[22:23], s[74:75], v[70:71] op_sel_hi:[1,0,1]
	v_pk_fma_f32 v[82:83], s[74:75], v[18:19], v[82:83] op_sel_hi:[0,1,1] neg_lo:[1,0,0] neg_hi:[1,0,0]
	s_delay_alu instid0(VALU_DEP_3) | instskip(NEXT) | instid1(VALU_DEP_3)
	v_pk_fma_f32 v[90:91], v[16:17], s[22:23], v[90:91] op_sel_hi:[1,0,1] neg_lo:[1,0,0] neg_hi:[1,0,0]
	v_pk_fma_f32 v[70:71], v[62:63], v[88:89], v[56:57]
	s_clause 0x1
	global_load_b128 v[56:59], v100, s[4:5] scale_offset
	global_load_b128 v[60:63], v100, s[4:5] offset:16 scale_offset
	s_wait_xcnt 0x0
	v_subrev_nc_u32_e32 v100, 42, v77
	v_pk_fma_f32 v[70:71], v[92:93], s[22:23], v[70:71] op_sel_hi:[1,0,1]
	s_clause 0x5
	s_load_b32 s86, s[68:69], 0xe0
	s_load_b32 s88, s[68:69], 0xfc
	s_load_b32 s90, s[68:69], 0x118
	s_load_b32 s78, s[68:69], 0x134
	s_load_b32 s74, s[68:69], 0x150
	s_load_b32 s22, s[68:69], 0x16c
	v_mov_b64_e32 v[92:93], s[42:43]
	s_wait_loadcnt 0x1
	v_pk_fma_f32 v[90:91], v[56:57], v[66:67], v[90:91] neg_lo:[1,0,0] neg_hi:[1,0,0]
	s_wait_loadcnt 0x0
	v_pk_fma_f32 v[66:67], v[66:67], v[60:61], v[84:85]
	v_xor_b32_e32 v89, 0x80000000, v59
	v_xor_b32_e32 v88, 0x80000000, v58
	;; [unrolled: 1-line block ×4, first 2 shown]
	s_wait_kmcnt 0x0
	v_pk_fma_f32 v[66:67], v[4:5], s[86:87], v[66:67] op_sel_hi:[1,0,1] neg_lo:[1,0,0] neg_hi:[1,0,0]
	v_pk_fma_f32 v[70:71], v[88:89], v[68:69], v[70:71]
	v_pk_fma_f32 v[68:69], v[68:69], v[62:63], v[82:83]
	v_mov_b64_e32 v[82:83], s[38:39]
	s_delay_alu instid0(VALU_DEP_4)
	v_pk_fma_f32 v[66:67], v[56:57], v[96:97], v[66:67]
	v_pk_fma_f32 v[56:57], v[4:5], s[82:83], v[90:91] op_sel_hi:[1,0,1]
	v_mov_b64_e32 v[88:89], s[40:41]
	v_pk_fma_f32 v[64:65], v[64:65], s[86:87], v[68:69] op_sel_hi:[1,0,1]
	v_mov_b64_e32 v[68:69], s[44:45]
	v_pk_fma_f32 v[66:67], s[82:83], v[0:1], v[66:67] op_sel_hi:[0,1,1] neg_lo:[1,0,0] neg_hi:[1,0,0]
	v_pk_fma_f32 v[90:91], v[60:61], v[96:97], v[56:57]
	v_pk_fma_f32 v[56:57], v[6:7], s[82:83], v[70:71] op_sel_hi:[1,0,1]
	v_pk_fma_f32 v[64:65], v[58:59], v[86:87], v[64:65]
	v_mov_b64_e32 v[96:97], s[48:49]
	s_delay_alu instid0(VALU_DEP_4) | instskip(NEXT) | instid1(VALU_DEP_4)
	v_pk_fma_f32 v[90:91], v[0:1], s[86:87], v[90:91] op_sel_hi:[1,0,1] neg_lo:[1,0,0] neg_hi:[1,0,0]
	v_pk_fma_f32 v[70:71], v[62:63], v[86:87], v[56:57]
	s_clause 0x1
	global_load_b128 v[56:59], v101, s[4:5] scale_offset
	global_load_b128 v[60:63], v101, s[4:5] offset:16 scale_offset
	v_pk_fma_f32 v[64:65], s[82:83], v[2:3], v[64:65] op_sel_hi:[0,1,1] neg_lo:[1,0,0] neg_hi:[1,0,0]
	s_wait_xcnt 0x0
	v_subrev_nc_u32_e32 v101, 28, v77
	v_pk_fma_f32 v[70:71], v[98:99], s[86:87], v[70:71] op_sel_hi:[1,0,1]
	v_xor_b32_e32 v99, 0x80000000, v27
	v_xor_b32_e32 v98, 0x80000000, v26
	s_wait_loadcnt 0x1
	v_xor_b32_e32 v87, 0x80000000, v59
	s_wait_loadcnt 0x0
	v_pk_fma_f32 v[66:67], v[82:83], v[60:61], v[66:67]
	v_xor_b32_e32 v86, 0x80000000, v58
	v_pk_fma_f32 v[90:91], v[56:57], v[82:83], v[90:91] neg_lo:[1,0,0] neg_hi:[1,0,0]
	v_pk_fma_f32 v[64:65], v[88:89], v[62:63], v[64:65]
	v_xor_b32_e32 v83, 0x80000000, v31
	v_pk_fma_f32 v[66:67], v[12:13], s[88:89], v[66:67] op_sel_hi:[1,0,1] neg_lo:[1,0,0] neg_hi:[1,0,0]
	v_pk_fma_f32 v[70:71], v[86:87], v[88:89], v[70:71]
	v_mov_b64_e32 v[88:89], s[46:47]
	v_pk_fma_f32 v[64:65], v[84:85], s[88:89], v[64:65] op_sel_hi:[1,0,1]
	v_mov_b64_e32 v[86:87], s[2:3]
	v_pk_fma_f32 v[66:67], v[56:57], v[92:93], v[66:67]
	v_pk_fma_f32 v[56:57], v[12:13], s[84:85], v[90:91] op_sel_hi:[1,0,1]
	v_xor_b32_e32 v82, 0x80000000, v30
	v_pk_fma_f32 v[64:65], v[58:59], v[68:69], v[64:65]
	v_mov_b64_e32 v[84:85], s[10:11]
	v_pk_fma_f32 v[66:67], s[84:85], v[8:9], v[66:67] op_sel_hi:[0,1,1] neg_lo:[1,0,0] neg_hi:[1,0,0]
	v_pk_fma_f32 v[90:91], v[60:61], v[92:93], v[56:57]
	v_pk_fma_f32 v[56:57], v[14:15], s[84:85], v[70:71] op_sel_hi:[1,0,1]
	v_pk_fma_f32 v[64:65], s[84:85], v[10:11], v[64:65] op_sel_hi:[0,1,1] neg_lo:[1,0,0] neg_hi:[1,0,0]
	v_mov_b64_e32 v[92:93], s[56:57]
	s_delay_alu instid0(VALU_DEP_4) | instskip(NEXT) | instid1(VALU_DEP_4)
	v_pk_fma_f32 v[90:91], v[8:9], s[88:89], v[90:91] op_sel_hi:[1,0,1] neg_lo:[1,0,0] neg_hi:[1,0,0]
	v_pk_fma_f32 v[68:69], v[62:63], v[68:69], v[56:57]
	s_clause 0x1
	global_load_b128 v[56:59], v100, s[4:5] scale_offset
	global_load_b128 v[60:63], v100, s[4:5] offset:16 scale_offset
	s_wait_xcnt 0x0
	v_add_nc_u32_e32 v100, -14, v77
	v_pk_fma_f32 v[68:69], v[94:95], s[88:89], v[68:69] op_sel_hi:[1,0,1]
	s_wait_loadcnt 0x1
	v_pk_fma_f32 v[90:91], v[56:57], v[88:89], v[90:91] neg_lo:[1,0,0] neg_hi:[1,0,0]
	s_wait_loadcnt 0x0
	v_pk_fma_f32 v[66:67], v[88:89], v[60:61], v[66:67]
	v_pk_fma_f32 v[64:65], v[86:87], v[62:63], v[64:65]
	v_xor_b32_e32 v71, 0x80000000, v59
	v_xor_b32_e32 v70, 0x80000000, v58
	v_xor_b32_e32 v89, 0x80000000, v39
	v_pk_fma_f32 v[66:67], v[28:29], s[90:91], v[66:67] op_sel_hi:[1,0,1] neg_lo:[1,0,0] neg_hi:[1,0,0]
	v_pk_fma_f32 v[64:65], v[82:83], s[90:91], v[64:65] op_sel_hi:[1,0,1]
	v_xor_b32_e32 v88, 0x80000000, v38
	v_pk_fma_f32 v[68:69], v[70:71], v[86:87], v[68:69]
	v_mov_b64_e32 v[70:71], s[52:53]
	v_pk_fma_f32 v[94:95], v[56:57], v[96:97], v[66:67]
	v_pk_fma_f32 v[56:57], v[28:29], s[80:81], v[90:91] op_sel_hi:[1,0,1]
	v_pk_fma_f32 v[82:83], v[58:59], v[84:85], v[64:65]
	v_mov_b64_e32 v[86:87], s[50:51]
	s_delay_alu instid0(VALU_DEP_3) | instskip(SKIP_4) | instid1(VALU_DEP_3)
	v_pk_fma_f32 v[90:91], v[60:61], v[96:97], v[56:57]
	global_load_b128 v[56:59], v101, s[4:5] scale_offset
	v_pk_fma_f32 v[60:61], v[30:31], s[80:81], v[68:69] op_sel_hi:[1,0,1]
	v_pk_fma_f32 v[82:83], s[80:81], v[26:27], v[82:83] op_sel_hi:[0,1,1] neg_lo:[1,0,0] neg_hi:[1,0,0]
	v_pk_fma_f32 v[90:91], v[24:25], s[90:91], v[90:91] op_sel_hi:[1,0,1] neg_lo:[1,0,0] neg_hi:[1,0,0]
	v_pk_fma_f32 v[68:69], v[62:63], v[84:85], v[60:61]
	s_clause 0x1
	global_load_b128 v[60:63], v101, s[4:5] offset:16 scale_offset
	global_load_b128 v[64:67], v100, s[4:5] scale_offset
	v_pk_fma_f32 v[68:69], v[98:99], s[90:91], v[68:69] op_sel_hi:[1,0,1]
	s_wait_loadcnt 0x2
	v_xor_b32_e32 v85, 0x80000000, v59
	v_xor_b32_e32 v84, 0x80000000, v58
	s_wait_loadcnt 0x1
	v_pk_fma_f32 v[82:83], v[70:71], v[62:63], v[82:83]
	s_delay_alu instid0(VALU_DEP_2) | instskip(SKIP_1) | instid1(VALU_DEP_3)
	v_pk_fma_f32 v[96:97], v[84:85], v[70:71], v[68:69]
	v_pk_fma_f32 v[84:85], s[80:81], v[24:25], v[94:95] op_sel_hi:[0,1,1] neg_lo:[1,0,0] neg_hi:[1,0,0]
	v_pk_fma_f32 v[82:83], v[88:89], s[78:79], v[82:83] op_sel_hi:[1,0,1]
	s_delay_alu instid0(VALU_DEP_2) | instskip(SKIP_2) | instid1(VALU_DEP_4)
	v_pk_fma_f32 v[84:85], v[86:87], v[60:61], v[84:85]
	v_pk_fma_f32 v[86:87], v[56:57], v[86:87], v[90:91] neg_lo:[1,0,0] neg_hi:[1,0,0]
	v_mov_b64_e32 v[90:91], s[54:55]
	v_pk_fma_f32 v[88:89], v[58:59], v[92:93], v[82:83]
	s_delay_alu instid0(VALU_DEP_4) | instskip(NEXT) | instid1(VALU_DEP_4)
	v_pk_fma_f32 v[84:85], v[36:37], s[78:79], v[84:85] op_sel_hi:[1,0,1] neg_lo:[1,0,0] neg_hi:[1,0,0]
	v_pk_fma_f32 v[82:83], v[36:37], s[76:77], v[86:87] op_sel_hi:[1,0,1]
	v_pk_fma_f32 v[86:87], v[38:39], s[76:77], v[96:97] op_sel_hi:[1,0,1]
	s_delay_alu instid0(VALU_DEP_4) | instskip(NEXT) | instid1(VALU_DEP_4)
	v_pk_fma_f32 v[88:89], s[76:77], v[34:35], v[88:89] op_sel_hi:[0,1,1] neg_lo:[1,0,0] neg_hi:[1,0,0]
	v_pk_fma_f32 v[94:95], v[56:57], v[90:91], v[84:85]
	global_load_b128 v[56:59], v77, s[4:5] scale_offset
	v_pk_fma_f32 v[60:61], v[60:61], v[90:91], v[82:83]
	global_load_b128 v[82:85], v77, s[4:5] offset:16 scale_offset
	s_wait_xcnt 0x0
	v_add_nc_u32_e32 v77, 2, v77
	global_load_b128 v[68:71], v100, s[4:5] offset:16 scale_offset
	v_pk_fma_f32 v[62:63], v[62:63], v[92:93], v[86:87]
	v_xor_b32_e32 v87, 0x80000000, v35
	v_xor_b32_e32 v86, 0x80000000, v34
	v_mov_b64_e32 v[90:91], s[16:17]
	v_mov_b64_e32 v[92:93], s[58:59]
	v_pk_fma_f32 v[60:61], v[32:33], s[78:79], v[60:61] op_sel_hi:[1,0,1] neg_lo:[1,0,0] neg_hi:[1,0,0]
	v_pk_fma_f32 v[94:95], s[76:77], v[32:33], v[94:95] op_sel_hi:[0,1,1] neg_lo:[1,0,0] neg_hi:[1,0,0]
	v_pk_fma_f32 v[62:63], v[86:87], s[78:79], v[62:63] op_sel_hi:[1,0,1]
	s_wait_loadcnt 0x3
	v_xor_b32_e32 v87, 0x80000000, v67
	v_xor_b32_e32 v86, 0x80000000, v66
	v_pk_fma_f32 v[60:61], v[64:65], v[92:93], v[60:61] neg_lo:[1,0,0] neg_hi:[1,0,0]
	s_delay_alu instid0(VALU_DEP_2) | instskip(SKIP_2) | instid1(VALU_DEP_4)
	v_pk_fma_f32 v[62:63], v[86:87], v[90:91], v[62:63]
	v_xor_b32_e32 v87, 0x80000000, v47
	v_xor_b32_e32 v86, 0x80000000, v46
	v_pk_fma_f32 v[60:61], v[44:45], s[72:73], v[60:61] op_sel_hi:[1,0,1]
	s_delay_alu instid0(VALU_DEP_4)
	v_pk_fma_f32 v[62:63], v[46:47], s[72:73], v[62:63] op_sel_hi:[1,0,1]
	s_wait_loadcnt 0x0
	v_pk_fma_f32 v[88:89], v[90:91], v[70:71], v[88:89]
	v_pk_fma_f32 v[92:93], v[92:93], v[68:69], v[94:95]
	v_mov_b64_e32 v[90:91], s[12:13]
	v_mov_b64_e32 v[94:95], s[60:61]
	s_delay_alu instid0(VALU_DEP_4) | instskip(NEXT) | instid1(VALU_DEP_4)
	v_pk_fma_f32 v[86:87], v[86:87], s[74:75], v[88:89] op_sel_hi:[1,0,1]
	v_pk_fma_f32 v[92:93], v[44:45], s[74:75], v[92:93] op_sel_hi:[1,0,1] neg_lo:[1,0,0] neg_hi:[1,0,0]
	v_xor_b32_e32 v89, 0x80000000, v43
	v_xor_b32_e32 v88, 0x80000000, v42
	v_pk_fma_f32 v[62:63], v[70:71], v[90:91], v[62:63]
	v_pk_fma_f32 v[66:67], v[66:67], v[90:91], v[86:87]
	;; [unrolled: 1-line block ×4, first 2 shown]
	v_mov_b64_e32 v[86:87], s[18:19]
	v_mov_b64_e32 v[92:93], s[62:63]
	v_pk_fma_f32 v[66:67], s[72:73], v[42:43], v[66:67] op_sel_hi:[0,1,1] neg_lo:[1,0,0] neg_hi:[1,0,0]
	v_pk_fma_f32 v[64:65], s[72:73], v[40:41], v[64:65] op_sel_hi:[0,1,1] neg_lo:[1,0,0] neg_hi:[1,0,0]
	v_pk_fma_f32 v[62:63], v[88:89], s[74:75], v[62:63] op_sel_hi:[1,0,1]
	v_xor_b32_e32 v89, 0x80000000, v59
	v_xor_b32_e32 v88, 0x80000000, v58
	v_pk_fma_f32 v[60:61], v[40:41], s[74:75], v[60:61] op_sel_hi:[1,0,1] neg_lo:[1,0,0] neg_hi:[1,0,0]
	v_xor_b32_e32 v69, 0x80000000, v55
	v_xor_b32_e32 v68, 0x80000000, v54
	v_pk_fma_f32 v[66:67], v[86:87], v[84:85], v[66:67]
	v_pk_fma_f32 v[64:65], v[92:93], v[82:83], v[64:65]
	v_pk_fma_f32 v[60:61], v[56:57], v[92:93], v[60:61] neg_lo:[1,0,0] neg_hi:[1,0,0]
	v_pk_fma_f32 v[62:63], v[88:89], v[86:87], v[62:63]
	v_mov_b64_e32 v[70:71], s[14:15]
	v_mov_b64_e32 v[90:91], s[64:65]
	v_pk_fma_f32 v[66:67], v[68:69], s[22:23], v[66:67] op_sel_hi:[1,0,1]
	v_pk_fma_f32 v[64:65], v[52:53], s[22:23], v[64:65] op_sel_hi:[1,0,1] neg_lo:[1,0,0] neg_hi:[1,0,0]
	v_pk_fma_f32 v[60:61], v[52:53], s[70:71], v[60:61] op_sel_hi:[1,0,1]
	v_pk_fma_f32 v[62:63], v[54:55], s[70:71], v[62:63] op_sel_hi:[1,0,1]
	v_xor_b32_e32 v95, 0x80000000, v51
	v_pk_fma_f32 v[58:59], v[58:59], v[70:71], v[66:67]
	v_pk_fma_f32 v[56:57], v[56:57], v[90:91], v[64:65]
	v_xor_b32_e32 v94, 0x80000000, v50
	v_pk_fma_f32 v[60:61], v[82:83], v[90:91], v[60:61]
	v_pk_fma_f32 v[62:63], v[84:85], v[70:71], v[62:63]
	v_pk_fma_f32 v[58:59], s[70:71], v[50:51], v[58:59] op_sel_hi:[0,1,1] neg_lo:[1,0,0] neg_hi:[1,0,0]
	v_pk_fma_f32 v[56:57], s[70:71], v[48:49], v[56:57] op_sel_hi:[0,1,1] neg_lo:[1,0,0] neg_hi:[1,0,0]
	s_delay_alu instid0(VALU_DEP_4) | instskip(NEXT) | instid1(VALU_DEP_4)
	v_pk_fma_f32 v[60:61], v[48:49], s[22:23], v[60:61] op_sel_hi:[1,0,1] neg_lo:[1,0,0] neg_hi:[1,0,0]
	v_pk_fma_f32 v[62:63], v[94:95], s[22:23], v[62:63] op_sel_hi:[1,0,1]
	s_clause 0x1
	global_store_b128 v[78:79], v[56:59], off offset:-16
	global_store_b128 v[78:79], v[60:63], off
	s_wait_xcnt 0x0
	v_add_nc_u64_e32 v[78:79], 32, v[78:79]
	s_cbranch_scc1 .LBB21_2
; %bb.3:                                ;   in Loop: Header=BB21_1 Depth=1
	v_add_nc_u32_e32 v76, 14, v76
	s_add_co_i32 s33, s33, 1
	s_delay_alu instid0(SALU_CYCLE_1)
	s_cmp_eq_u32 s33, 7
	s_cbranch_scc0 .LBB21_1
; %bb.4:
	s_sendmsg sendmsg(MSG_DEALLOC_VGPRS)
	s_endpgm
	.section	.rodata,"a",@progbits
	.p2align	6, 0x0
	.amdhsa_kernel _Z34comm_manual_aosoa_constants_directPK15HIP_vector_typeIfLj2EEPS0_S2_
		.amdhsa_group_segment_fixed_size 0
		.amdhsa_private_segment_fixed_size 0
		.amdhsa_kernarg_size 280
		.amdhsa_user_sgpr_count 2
		.amdhsa_user_sgpr_dispatch_ptr 0
		.amdhsa_user_sgpr_queue_ptr 0
		.amdhsa_user_sgpr_kernarg_segment_ptr 1
		.amdhsa_user_sgpr_dispatch_id 0
		.amdhsa_user_sgpr_kernarg_preload_length 0
		.amdhsa_user_sgpr_kernarg_preload_offset 0
		.amdhsa_user_sgpr_private_segment_size 0
		.amdhsa_wavefront_size32 1
		.amdhsa_uses_dynamic_stack 0
		.amdhsa_enable_private_segment 0
		.amdhsa_system_sgpr_workgroup_id_x 1
		.amdhsa_system_sgpr_workgroup_id_y 0
		.amdhsa_system_sgpr_workgroup_id_z 0
		.amdhsa_system_sgpr_workgroup_info 0
		.amdhsa_system_vgpr_workitem_id 0
		.amdhsa_next_free_vgpr 102
		.amdhsa_next_free_sgpr 92
		.amdhsa_named_barrier_count 0
		.amdhsa_reserve_vcc 0
		.amdhsa_float_round_mode_32 0
		.amdhsa_float_round_mode_16_64 0
		.amdhsa_float_denorm_mode_32 3
		.amdhsa_float_denorm_mode_16_64 3
		.amdhsa_fp16_overflow 0
		.amdhsa_memory_ordered 1
		.amdhsa_forward_progress 1
		.amdhsa_inst_pref_size 21
		.amdhsa_round_robin_scheduling 0
		.amdhsa_exception_fp_ieee_invalid_op 0
		.amdhsa_exception_fp_denorm_src 0
		.amdhsa_exception_fp_ieee_div_zero 0
		.amdhsa_exception_fp_ieee_overflow 0
		.amdhsa_exception_fp_ieee_underflow 0
		.amdhsa_exception_fp_ieee_inexact 0
		.amdhsa_exception_int_div_zero 0
	.end_amdhsa_kernel
	.text
.Lfunc_end21:
	.size	_Z34comm_manual_aosoa_constants_directPK15HIP_vector_typeIfLj2EEPS0_S2_, .Lfunc_end21-_Z34comm_manual_aosoa_constants_directPK15HIP_vector_typeIfLj2EEPS0_S2_
                                        ; -- End function
	.set _Z34comm_manual_aosoa_constants_directPK15HIP_vector_typeIfLj2EEPS0_S2_.num_vgpr, 102
	.set _Z34comm_manual_aosoa_constants_directPK15HIP_vector_typeIfLj2EEPS0_S2_.num_agpr, 0
	.set _Z34comm_manual_aosoa_constants_directPK15HIP_vector_typeIfLj2EEPS0_S2_.numbered_sgpr, 92
	.set _Z34comm_manual_aosoa_constants_directPK15HIP_vector_typeIfLj2EEPS0_S2_.num_named_barrier, 0
	.set _Z34comm_manual_aosoa_constants_directPK15HIP_vector_typeIfLj2EEPS0_S2_.private_seg_size, 0
	.set _Z34comm_manual_aosoa_constants_directPK15HIP_vector_typeIfLj2EEPS0_S2_.uses_vcc, 0
	.set _Z34comm_manual_aosoa_constants_directPK15HIP_vector_typeIfLj2EEPS0_S2_.uses_flat_scratch, 0
	.set _Z34comm_manual_aosoa_constants_directPK15HIP_vector_typeIfLj2EEPS0_S2_.has_dyn_sized_stack, 0
	.set _Z34comm_manual_aosoa_constants_directPK15HIP_vector_typeIfLj2EEPS0_S2_.has_recursion, 0
	.set _Z34comm_manual_aosoa_constants_directPK15HIP_vector_typeIfLj2EEPS0_S2_.has_indirect_call, 0
	.section	.AMDGPU.csdata,"",@progbits
; Kernel info:
; codeLenInByte = 2580
; TotalNumSgprs: 92
; NumVgprs: 102
; ScratchSize: 0
; MemoryBound: 1
; FloatMode: 240
; IeeeMode: 1
; LDSByteSize: 0 bytes/workgroup (compile time only)
; SGPRBlocks: 0
; VGPRBlocks: 6
; NumSGPRsForWavesPerEU: 92
; NumVGPRsForWavesPerEU: 102
; NamedBarCnt: 0
; Occupancy: 9
; WaveLimiterHint : 1
; COMPUTE_PGM_RSRC2:SCRATCH_EN: 0
; COMPUTE_PGM_RSRC2:USER_SGPR: 2
; COMPUTE_PGM_RSRC2:TRAP_HANDLER: 0
; COMPUTE_PGM_RSRC2:TGID_X_EN: 1
; COMPUTE_PGM_RSRC2:TGID_Y_EN: 0
; COMPUTE_PGM_RSRC2:TGID_Z_EN: 0
; COMPUTE_PGM_RSRC2:TIDIG_COMP_CNT: 0
	.text
	.protected	_Z43comm_manual_aosoa_constants_direct_prefetchPK15HIP_vector_typeIfLj2EEPS0_S2_ ; -- Begin function _Z43comm_manual_aosoa_constants_direct_prefetchPK15HIP_vector_typeIfLj2EEPS0_S2_
	.globl	_Z43comm_manual_aosoa_constants_direct_prefetchPK15HIP_vector_typeIfLj2EEPS0_S2_
	.p2align	8
	.type	_Z43comm_manual_aosoa_constants_direct_prefetchPK15HIP_vector_typeIfLj2EEPS0_S2_,@function
_Z43comm_manual_aosoa_constants_direct_prefetchPK15HIP_vector_typeIfLj2EEPS0_S2_: ; @_Z43comm_manual_aosoa_constants_direct_prefetchPK15HIP_vector_typeIfLj2EEPS0_S2_
; %bb.0:
	s_load_b32 s2, s[0:1], 0x24
	s_bfe_u32 s3, ttmp6, 0x4000c
	s_and_b32 s4, ttmp6, 15
	s_add_co_i32 s3, s3, 1
	s_getreg_b32 s5, hwreg(HW_REG_IB_STS2, 6, 4)
	s_mul_i32 s3, ttmp9, s3
	s_mov_b32 s23, 0
	s_add_co_i32 s4, s4, s3
	s_mov_b32 s33, 0
	s_load_b64 s[20:21], s[0:1], 0x10
	s_wait_kmcnt 0x0
	s_and_b32 s2, s2, 0xffff
	s_cmp_eq_u32 s5, 0
	s_cselect_b32 s3, ttmp9, s4
	s_load_b128 s[4:7], s[0:1], 0x0
	v_mad_u32 v0, s3, s2, v0
	s_delay_alu instid0(VALU_DEP_1) | instskip(SKIP_2) | instid1(VALU_DEP_1)
	v_mul_lo_u32 v72, 0x62, v0
	s_wait_kmcnt 0x0
	s_add_nc_u64 s[6:7], s[6:7], 16
	v_dual_mov_b32 v76, v72 :: v_dual_ashrrev_i32 v73, 31, v72
	s_delay_alu instid0(VALU_DEP_1) | instskip(SKIP_1) | instid1(VALU_DEP_2)
	v_lshl_add_u64 v[0:1], v[72:73], 4, s[4:5]
	v_add_nc_u32_e32 v73, 0x54, v72
	v_add_nc_u64_e32 v[74:75], 16, v[0:1]
.LBB22_1:                               ; =>This Loop Header: Depth=1
                                        ;     Child Loop BB22_2 Depth 2
	s_mul_i32 s22, s33, 7
	v_mad_u32 v24, s33, 14, v72
	s_lshl_b32 s0, s22, 1
	v_ashrrev_i32_e32 v77, 31, v76
	v_add3_u32 v25, s0, 2, v72
	v_add3_u32 v32, s0, 6, v72
	;; [unrolled: 1-line block ×6, first 2 shown]
	s_clause 0xd
	global_load_b128 v[0:3], v25, s[4:5] offset:16 scale_offset
	global_load_b128 v[4:7], v25, s[4:5] scale_offset
	global_load_b128 v[8:11], v26, s[4:5] offset:16 scale_offset
	global_load_b128 v[12:15], v26, s[4:5] scale_offset
	;; [unrolled: 2-line block ×7, first 2 shown]
	s_lshl_b64 s[0:1], s[22:23], 2
	v_mov_b64_e32 v[80:81], v[74:75]
	s_add_nc_u64 s[24:25], s[20:21], s[0:1]
	s_clause 0x3
	s_load_b128 s[0:3], s[24:25], 0x0
	s_load_b128 s[8:11], s[24:25], 0xc4
	s_load_b96 s[12:14], s[24:25], 0xd4
	s_load_b96 s[16:18], s[24:25], 0x10
	v_lshl_add_u64 v[78:79], v[76:77], 4, s[6:7]
	v_mov_b32_e32 v77, v73
	s_mov_b64 s[66:67], 0
	s_wait_kmcnt 0x0
	s_wait_xcnt 0x0
	s_mov_b32 s24, s0
	s_mov_b32 s25, s0
	;; [unrolled: 1-line block ×48, first 2 shown]
.LBB22_2:                               ;   Parent Loop BB22_1 Depth=1
                                        ; =>  This Inner Loop Header: Depth=2
	global_load_b128 v[56:59], v[80:81], off offset:-16
	s_clause 0x1
	global_load_b128 v[68:71], v[78:79], off
	global_load_b128 v[64:67], v[78:79], off offset:-16
	global_load_b128 v[60:63], v[80:81], off
	s_add_nc_u64 s[68:69], s[20:21], s[66:67]
	s_clause 0x1
	s_load_b32 s22, s[68:69], 0xc4
	s_load_b32 s70, s[68:69], 0xa8
	v_mov_b64_e32 v[86:87], s[26:27]
	v_mov_b64_e32 v[84:85], s[24:25]
	s_clause 0x5
	s_load_b32 s74, s[68:69], 0x0
	s_load_b32 s82, s[68:69], 0x1c
	;; [unrolled: 1-line block ×6, first 2 shown]
	v_mov_b64_e32 v[90:91], s[28:29]
	s_wait_loadcnt 0xc
	v_xor_b32_e32 v83, 0x80000000, v23
	v_xor_b32_e32 v82, 0x80000000, v22
	v_mov_b64_e32 v[88:89], s[30:31]
	v_add_nc_u32_e32 v100, 0xffffffba, v77
	v_xor_b32_e32 v93, 0x80000000, v19
	v_xor_b32_e32 v92, 0x80000000, v18
	v_mov_b64_e32 v[96:97], s[36:37]
	v_subrev_nc_u32_e32 v101, 56, v77
	v_xor_b32_e32 v99, 0x80000000, v3
	v_xor_b32_e32 v98, 0x80000000, v2
	v_add_nc_u64_e32 v[80:81], 32, v[80:81]
	s_add_nc_u64 s[66:67], s[66:67], 4
	s_delay_alu instid0(SALU_CYCLE_1) | instskip(SKIP_4) | instid1(VALU_DEP_1)
	s_cmp_lg_u32 s66, 28
	s_wait_loadcnt 0x3
	v_xor_b32_e32 v95, 0x80000000, v59
	v_xor_b32_e32 v94, 0x80000000, v58
	s_wait_loadcnt 0x2
	v_pk_fma_f32 v[70:71], v[94:95], v[86:87], v[70:71]
	v_pk_fma_f32 v[94:95], v[56:57], v[84:85], v[68:69] neg_lo:[1,0,0] neg_hi:[1,0,0]
	s_wait_loadcnt 0x0
	v_pk_fma_f32 v[84:85], v[84:85], v[60:61], v[64:65]
	v_pk_fma_f32 v[86:87], v[86:87], v[62:63], v[66:67]
	v_mov_b64_e32 v[66:67], s[34:35]
	v_mov_b64_e32 v[68:69], s[0:1]
	v_xor_b32_e32 v65, 0x80000000, v7
	s_wait_kmcnt 0x0
	v_pk_fma_f32 v[84:85], v[20:21], s[22:23], v[84:85] op_sel_hi:[1,0,1] neg_lo:[1,0,0] neg_hi:[1,0,0]
	v_pk_fma_f32 v[82:83], v[82:83], s[22:23], v[86:87] op_sel_hi:[1,0,1]
	v_xor_b32_e32 v64, 0x80000000, v6
	v_mov_b64_e32 v[86:87], s[8:9]
	s_delay_alu instid0(VALU_DEP_4)
	v_pk_fma_f32 v[84:85], v[56:57], v[90:91], v[84:85]
	v_pk_fma_f32 v[56:57], v[20:21], s[74:75], v[94:95] op_sel_hi:[1,0,1]
	v_pk_fma_f32 v[82:83], v[58:59], v[88:89], v[82:83]
	v_xor_b32_e32 v95, 0x80000000, v11
	v_xor_b32_e32 v94, 0x80000000, v10
	v_pk_fma_f32 v[84:85], s[74:75], v[16:17], v[84:85] op_sel_hi:[0,1,1] neg_lo:[1,0,0] neg_hi:[1,0,0]
	v_pk_fma_f32 v[90:91], v[60:61], v[90:91], v[56:57]
	v_pk_fma_f32 v[56:57], v[22:23], s[74:75], v[70:71] op_sel_hi:[1,0,1]
	v_pk_fma_f32 v[82:83], s[74:75], v[18:19], v[82:83] op_sel_hi:[0,1,1] neg_lo:[1,0,0] neg_hi:[1,0,0]
	s_delay_alu instid0(VALU_DEP_3) | instskip(NEXT) | instid1(VALU_DEP_3)
	v_pk_fma_f32 v[90:91], v[16:17], s[22:23], v[90:91] op_sel_hi:[1,0,1] neg_lo:[1,0,0] neg_hi:[1,0,0]
	v_pk_fma_f32 v[70:71], v[62:63], v[88:89], v[56:57]
	s_clause 0x1
	global_load_b128 v[56:59], v100, s[4:5] scale_offset
	global_load_b128 v[60:63], v100, s[4:5] offset:16 scale_offset
	s_wait_xcnt 0x0
	v_subrev_nc_u32_e32 v100, 42, v77
	v_pk_fma_f32 v[70:71], v[92:93], s[22:23], v[70:71] op_sel_hi:[1,0,1]
	s_clause 0x5
	s_load_b32 s86, s[68:69], 0xe0
	s_load_b32 s88, s[68:69], 0xfc
	;; [unrolled: 1-line block ×6, first 2 shown]
	v_mov_b64_e32 v[92:93], s[42:43]
	s_wait_loadcnt 0x1
	v_pk_fma_f32 v[90:91], v[56:57], v[66:67], v[90:91] neg_lo:[1,0,0] neg_hi:[1,0,0]
	s_wait_loadcnt 0x0
	v_pk_fma_f32 v[66:67], v[66:67], v[60:61], v[84:85]
	v_xor_b32_e32 v89, 0x80000000, v59
	v_xor_b32_e32 v88, 0x80000000, v58
	;; [unrolled: 1-line block ×4, first 2 shown]
	s_wait_kmcnt 0x0
	v_pk_fma_f32 v[66:67], v[4:5], s[86:87], v[66:67] op_sel_hi:[1,0,1] neg_lo:[1,0,0] neg_hi:[1,0,0]
	v_pk_fma_f32 v[70:71], v[88:89], v[68:69], v[70:71]
	v_pk_fma_f32 v[68:69], v[68:69], v[62:63], v[82:83]
	v_mov_b64_e32 v[82:83], s[38:39]
	s_delay_alu instid0(VALU_DEP_4)
	v_pk_fma_f32 v[66:67], v[56:57], v[96:97], v[66:67]
	v_pk_fma_f32 v[56:57], v[4:5], s[82:83], v[90:91] op_sel_hi:[1,0,1]
	v_mov_b64_e32 v[88:89], s[40:41]
	v_pk_fma_f32 v[64:65], v[64:65], s[86:87], v[68:69] op_sel_hi:[1,0,1]
	v_mov_b64_e32 v[68:69], s[44:45]
	v_pk_fma_f32 v[66:67], s[82:83], v[0:1], v[66:67] op_sel_hi:[0,1,1] neg_lo:[1,0,0] neg_hi:[1,0,0]
	v_pk_fma_f32 v[90:91], v[60:61], v[96:97], v[56:57]
	v_pk_fma_f32 v[56:57], v[6:7], s[82:83], v[70:71] op_sel_hi:[1,0,1]
	v_pk_fma_f32 v[64:65], v[58:59], v[86:87], v[64:65]
	v_mov_b64_e32 v[96:97], s[48:49]
	s_delay_alu instid0(VALU_DEP_4) | instskip(NEXT) | instid1(VALU_DEP_4)
	v_pk_fma_f32 v[90:91], v[0:1], s[86:87], v[90:91] op_sel_hi:[1,0,1] neg_lo:[1,0,0] neg_hi:[1,0,0]
	v_pk_fma_f32 v[70:71], v[62:63], v[86:87], v[56:57]
	s_clause 0x1
	global_load_b128 v[56:59], v101, s[4:5] scale_offset
	global_load_b128 v[60:63], v101, s[4:5] offset:16 scale_offset
	v_pk_fma_f32 v[64:65], s[82:83], v[2:3], v[64:65] op_sel_hi:[0,1,1] neg_lo:[1,0,0] neg_hi:[1,0,0]
	s_wait_xcnt 0x0
	v_subrev_nc_u32_e32 v101, 28, v77
	v_pk_fma_f32 v[70:71], v[98:99], s[86:87], v[70:71] op_sel_hi:[1,0,1]
	v_xor_b32_e32 v99, 0x80000000, v27
	v_xor_b32_e32 v98, 0x80000000, v26
	s_wait_loadcnt 0x1
	v_xor_b32_e32 v87, 0x80000000, v59
	s_wait_loadcnt 0x0
	v_pk_fma_f32 v[66:67], v[82:83], v[60:61], v[66:67]
	v_xor_b32_e32 v86, 0x80000000, v58
	v_pk_fma_f32 v[90:91], v[56:57], v[82:83], v[90:91] neg_lo:[1,0,0] neg_hi:[1,0,0]
	v_pk_fma_f32 v[64:65], v[88:89], v[62:63], v[64:65]
	v_xor_b32_e32 v83, 0x80000000, v31
	v_pk_fma_f32 v[66:67], v[12:13], s[88:89], v[66:67] op_sel_hi:[1,0,1] neg_lo:[1,0,0] neg_hi:[1,0,0]
	v_pk_fma_f32 v[70:71], v[86:87], v[88:89], v[70:71]
	v_mov_b64_e32 v[88:89], s[46:47]
	v_pk_fma_f32 v[64:65], v[84:85], s[88:89], v[64:65] op_sel_hi:[1,0,1]
	v_mov_b64_e32 v[86:87], s[2:3]
	v_pk_fma_f32 v[66:67], v[56:57], v[92:93], v[66:67]
	v_pk_fma_f32 v[56:57], v[12:13], s[84:85], v[90:91] op_sel_hi:[1,0,1]
	v_xor_b32_e32 v82, 0x80000000, v30
	v_pk_fma_f32 v[64:65], v[58:59], v[68:69], v[64:65]
	v_mov_b64_e32 v[84:85], s[10:11]
	v_pk_fma_f32 v[66:67], s[84:85], v[8:9], v[66:67] op_sel_hi:[0,1,1] neg_lo:[1,0,0] neg_hi:[1,0,0]
	v_pk_fma_f32 v[90:91], v[60:61], v[92:93], v[56:57]
	v_pk_fma_f32 v[56:57], v[14:15], s[84:85], v[70:71] op_sel_hi:[1,0,1]
	v_pk_fma_f32 v[64:65], s[84:85], v[10:11], v[64:65] op_sel_hi:[0,1,1] neg_lo:[1,0,0] neg_hi:[1,0,0]
	v_mov_b64_e32 v[92:93], s[56:57]
	s_delay_alu instid0(VALU_DEP_4) | instskip(NEXT) | instid1(VALU_DEP_4)
	v_pk_fma_f32 v[90:91], v[8:9], s[88:89], v[90:91] op_sel_hi:[1,0,1] neg_lo:[1,0,0] neg_hi:[1,0,0]
	v_pk_fma_f32 v[68:69], v[62:63], v[68:69], v[56:57]
	s_clause 0x1
	global_load_b128 v[56:59], v100, s[4:5] scale_offset
	global_load_b128 v[60:63], v100, s[4:5] offset:16 scale_offset
	s_wait_xcnt 0x0
	v_add_nc_u32_e32 v100, -14, v77
	v_pk_fma_f32 v[68:69], v[94:95], s[88:89], v[68:69] op_sel_hi:[1,0,1]
	s_wait_loadcnt 0x1
	v_pk_fma_f32 v[90:91], v[56:57], v[88:89], v[90:91] neg_lo:[1,0,0] neg_hi:[1,0,0]
	s_wait_loadcnt 0x0
	v_pk_fma_f32 v[66:67], v[88:89], v[60:61], v[66:67]
	v_pk_fma_f32 v[64:65], v[86:87], v[62:63], v[64:65]
	v_xor_b32_e32 v71, 0x80000000, v59
	v_xor_b32_e32 v70, 0x80000000, v58
	;; [unrolled: 1-line block ×3, first 2 shown]
	v_pk_fma_f32 v[66:67], v[28:29], s[90:91], v[66:67] op_sel_hi:[1,0,1] neg_lo:[1,0,0] neg_hi:[1,0,0]
	v_pk_fma_f32 v[64:65], v[82:83], s[90:91], v[64:65] op_sel_hi:[1,0,1]
	v_xor_b32_e32 v88, 0x80000000, v38
	v_pk_fma_f32 v[68:69], v[70:71], v[86:87], v[68:69]
	v_mov_b64_e32 v[70:71], s[52:53]
	v_pk_fma_f32 v[94:95], v[56:57], v[96:97], v[66:67]
	v_pk_fma_f32 v[56:57], v[28:29], s[80:81], v[90:91] op_sel_hi:[1,0,1]
	v_pk_fma_f32 v[82:83], v[58:59], v[84:85], v[64:65]
	v_mov_b64_e32 v[86:87], s[50:51]
	s_delay_alu instid0(VALU_DEP_3) | instskip(SKIP_4) | instid1(VALU_DEP_3)
	v_pk_fma_f32 v[90:91], v[60:61], v[96:97], v[56:57]
	global_load_b128 v[56:59], v101, s[4:5] scale_offset
	v_pk_fma_f32 v[60:61], v[30:31], s[80:81], v[68:69] op_sel_hi:[1,0,1]
	v_pk_fma_f32 v[82:83], s[80:81], v[26:27], v[82:83] op_sel_hi:[0,1,1] neg_lo:[1,0,0] neg_hi:[1,0,0]
	v_pk_fma_f32 v[90:91], v[24:25], s[90:91], v[90:91] op_sel_hi:[1,0,1] neg_lo:[1,0,0] neg_hi:[1,0,0]
	v_pk_fma_f32 v[68:69], v[62:63], v[84:85], v[60:61]
	s_clause 0x1
	global_load_b128 v[60:63], v101, s[4:5] offset:16 scale_offset
	global_load_b128 v[64:67], v100, s[4:5] scale_offset
	v_pk_fma_f32 v[68:69], v[98:99], s[90:91], v[68:69] op_sel_hi:[1,0,1]
	s_wait_loadcnt 0x2
	v_xor_b32_e32 v85, 0x80000000, v59
	v_xor_b32_e32 v84, 0x80000000, v58
	s_wait_loadcnt 0x1
	v_pk_fma_f32 v[82:83], v[70:71], v[62:63], v[82:83]
	s_delay_alu instid0(VALU_DEP_2) | instskip(SKIP_1) | instid1(VALU_DEP_3)
	v_pk_fma_f32 v[96:97], v[84:85], v[70:71], v[68:69]
	v_pk_fma_f32 v[84:85], s[80:81], v[24:25], v[94:95] op_sel_hi:[0,1,1] neg_lo:[1,0,0] neg_hi:[1,0,0]
	v_pk_fma_f32 v[82:83], v[88:89], s[78:79], v[82:83] op_sel_hi:[1,0,1]
	s_delay_alu instid0(VALU_DEP_2) | instskip(SKIP_2) | instid1(VALU_DEP_4)
	v_pk_fma_f32 v[84:85], v[86:87], v[60:61], v[84:85]
	v_pk_fma_f32 v[86:87], v[56:57], v[86:87], v[90:91] neg_lo:[1,0,0] neg_hi:[1,0,0]
	v_mov_b64_e32 v[90:91], s[54:55]
	v_pk_fma_f32 v[88:89], v[58:59], v[92:93], v[82:83]
	s_delay_alu instid0(VALU_DEP_4) | instskip(NEXT) | instid1(VALU_DEP_4)
	v_pk_fma_f32 v[84:85], v[36:37], s[78:79], v[84:85] op_sel_hi:[1,0,1] neg_lo:[1,0,0] neg_hi:[1,0,0]
	v_pk_fma_f32 v[82:83], v[36:37], s[76:77], v[86:87] op_sel_hi:[1,0,1]
	v_pk_fma_f32 v[86:87], v[38:39], s[76:77], v[96:97] op_sel_hi:[1,0,1]
	s_delay_alu instid0(VALU_DEP_4) | instskip(NEXT) | instid1(VALU_DEP_4)
	v_pk_fma_f32 v[88:89], s[76:77], v[34:35], v[88:89] op_sel_hi:[0,1,1] neg_lo:[1,0,0] neg_hi:[1,0,0]
	v_pk_fma_f32 v[94:95], v[56:57], v[90:91], v[84:85]
	global_load_b128 v[56:59], v77, s[4:5] scale_offset
	v_pk_fma_f32 v[60:61], v[60:61], v[90:91], v[82:83]
	global_load_b128 v[82:85], v77, s[4:5] offset:16 scale_offset
	s_wait_xcnt 0x0
	v_add_nc_u32_e32 v77, 2, v77
	global_load_b128 v[68:71], v100, s[4:5] offset:16 scale_offset
	v_pk_fma_f32 v[62:63], v[62:63], v[92:93], v[86:87]
	v_xor_b32_e32 v87, 0x80000000, v35
	v_xor_b32_e32 v86, 0x80000000, v34
	v_mov_b64_e32 v[90:91], s[16:17]
	v_mov_b64_e32 v[92:93], s[58:59]
	v_pk_fma_f32 v[60:61], v[32:33], s[78:79], v[60:61] op_sel_hi:[1,0,1] neg_lo:[1,0,0] neg_hi:[1,0,0]
	v_pk_fma_f32 v[94:95], s[76:77], v[32:33], v[94:95] op_sel_hi:[0,1,1] neg_lo:[1,0,0] neg_hi:[1,0,0]
	v_pk_fma_f32 v[62:63], v[86:87], s[78:79], v[62:63] op_sel_hi:[1,0,1]
	s_wait_loadcnt 0x3
	v_xor_b32_e32 v87, 0x80000000, v67
	v_xor_b32_e32 v86, 0x80000000, v66
	v_pk_fma_f32 v[60:61], v[64:65], v[92:93], v[60:61] neg_lo:[1,0,0] neg_hi:[1,0,0]
	s_delay_alu instid0(VALU_DEP_2) | instskip(SKIP_2) | instid1(VALU_DEP_4)
	v_pk_fma_f32 v[62:63], v[86:87], v[90:91], v[62:63]
	v_xor_b32_e32 v87, 0x80000000, v47
	v_xor_b32_e32 v86, 0x80000000, v46
	v_pk_fma_f32 v[60:61], v[44:45], s[72:73], v[60:61] op_sel_hi:[1,0,1]
	s_delay_alu instid0(VALU_DEP_4)
	v_pk_fma_f32 v[62:63], v[46:47], s[72:73], v[62:63] op_sel_hi:[1,0,1]
	s_wait_loadcnt 0x0
	v_pk_fma_f32 v[88:89], v[90:91], v[70:71], v[88:89]
	v_pk_fma_f32 v[92:93], v[92:93], v[68:69], v[94:95]
	v_mov_b64_e32 v[90:91], s[12:13]
	v_mov_b64_e32 v[94:95], s[60:61]
	s_delay_alu instid0(VALU_DEP_4) | instskip(NEXT) | instid1(VALU_DEP_4)
	v_pk_fma_f32 v[86:87], v[86:87], s[74:75], v[88:89] op_sel_hi:[1,0,1]
	v_pk_fma_f32 v[92:93], v[44:45], s[74:75], v[92:93] op_sel_hi:[1,0,1] neg_lo:[1,0,0] neg_hi:[1,0,0]
	v_xor_b32_e32 v89, 0x80000000, v43
	v_xor_b32_e32 v88, 0x80000000, v42
	v_pk_fma_f32 v[62:63], v[70:71], v[90:91], v[62:63]
	v_pk_fma_f32 v[66:67], v[66:67], v[90:91], v[86:87]
	;; [unrolled: 1-line block ×4, first 2 shown]
	v_mov_b64_e32 v[86:87], s[18:19]
	v_mov_b64_e32 v[92:93], s[62:63]
	v_pk_fma_f32 v[66:67], s[72:73], v[42:43], v[66:67] op_sel_hi:[0,1,1] neg_lo:[1,0,0] neg_hi:[1,0,0]
	v_pk_fma_f32 v[64:65], s[72:73], v[40:41], v[64:65] op_sel_hi:[0,1,1] neg_lo:[1,0,0] neg_hi:[1,0,0]
	v_pk_fma_f32 v[62:63], v[88:89], s[74:75], v[62:63] op_sel_hi:[1,0,1]
	v_xor_b32_e32 v89, 0x80000000, v59
	v_xor_b32_e32 v88, 0x80000000, v58
	v_pk_fma_f32 v[60:61], v[40:41], s[74:75], v[60:61] op_sel_hi:[1,0,1] neg_lo:[1,0,0] neg_hi:[1,0,0]
	v_xor_b32_e32 v69, 0x80000000, v55
	v_xor_b32_e32 v68, 0x80000000, v54
	v_pk_fma_f32 v[66:67], v[86:87], v[84:85], v[66:67]
	v_pk_fma_f32 v[64:65], v[92:93], v[82:83], v[64:65]
	v_pk_fma_f32 v[60:61], v[56:57], v[92:93], v[60:61] neg_lo:[1,0,0] neg_hi:[1,0,0]
	v_pk_fma_f32 v[62:63], v[88:89], v[86:87], v[62:63]
	v_mov_b64_e32 v[70:71], s[14:15]
	v_mov_b64_e32 v[90:91], s[64:65]
	v_pk_fma_f32 v[66:67], v[68:69], s[22:23], v[66:67] op_sel_hi:[1,0,1]
	v_pk_fma_f32 v[64:65], v[52:53], s[22:23], v[64:65] op_sel_hi:[1,0,1] neg_lo:[1,0,0] neg_hi:[1,0,0]
	v_pk_fma_f32 v[60:61], v[52:53], s[70:71], v[60:61] op_sel_hi:[1,0,1]
	v_pk_fma_f32 v[62:63], v[54:55], s[70:71], v[62:63] op_sel_hi:[1,0,1]
	v_xor_b32_e32 v95, 0x80000000, v51
	v_pk_fma_f32 v[58:59], v[58:59], v[70:71], v[66:67]
	v_pk_fma_f32 v[56:57], v[56:57], v[90:91], v[64:65]
	v_xor_b32_e32 v94, 0x80000000, v50
	v_pk_fma_f32 v[60:61], v[82:83], v[90:91], v[60:61]
	v_pk_fma_f32 v[62:63], v[84:85], v[70:71], v[62:63]
	v_pk_fma_f32 v[58:59], s[70:71], v[50:51], v[58:59] op_sel_hi:[0,1,1] neg_lo:[1,0,0] neg_hi:[1,0,0]
	v_pk_fma_f32 v[56:57], s[70:71], v[48:49], v[56:57] op_sel_hi:[0,1,1] neg_lo:[1,0,0] neg_hi:[1,0,0]
	s_delay_alu instid0(VALU_DEP_4) | instskip(NEXT) | instid1(VALU_DEP_4)
	v_pk_fma_f32 v[60:61], v[48:49], s[22:23], v[60:61] op_sel_hi:[1,0,1] neg_lo:[1,0,0] neg_hi:[1,0,0]
	v_pk_fma_f32 v[62:63], v[94:95], s[22:23], v[62:63] op_sel_hi:[1,0,1]
	s_clause 0x1
	global_store_b128 v[78:79], v[56:59], off offset:-16
	global_store_b128 v[78:79], v[60:63], off
	s_wait_xcnt 0x0
	v_add_nc_u64_e32 v[78:79], 32, v[78:79]
	s_cbranch_scc1 .LBB22_2
; %bb.3:                                ;   in Loop: Header=BB22_1 Depth=1
	v_add_nc_u32_e32 v76, 14, v76
	s_add_co_i32 s33, s33, 1
	s_delay_alu instid0(SALU_CYCLE_1)
	s_cmp_eq_u32 s33, 7
	s_cbranch_scc0 .LBB22_1
; %bb.4:
	s_sendmsg sendmsg(MSG_DEALLOC_VGPRS)
	s_endpgm
	.section	.rodata,"a",@progbits
	.p2align	6, 0x0
	.amdhsa_kernel _Z43comm_manual_aosoa_constants_direct_prefetchPK15HIP_vector_typeIfLj2EEPS0_S2_
		.amdhsa_group_segment_fixed_size 0
		.amdhsa_private_segment_fixed_size 0
		.amdhsa_kernarg_size 280
		.amdhsa_user_sgpr_count 2
		.amdhsa_user_sgpr_dispatch_ptr 0
		.amdhsa_user_sgpr_queue_ptr 0
		.amdhsa_user_sgpr_kernarg_segment_ptr 1
		.amdhsa_user_sgpr_dispatch_id 0
		.amdhsa_user_sgpr_kernarg_preload_length 0
		.amdhsa_user_sgpr_kernarg_preload_offset 0
		.amdhsa_user_sgpr_private_segment_size 0
		.amdhsa_wavefront_size32 1
		.amdhsa_uses_dynamic_stack 0
		.amdhsa_enable_private_segment 0
		.amdhsa_system_sgpr_workgroup_id_x 1
		.amdhsa_system_sgpr_workgroup_id_y 0
		.amdhsa_system_sgpr_workgroup_id_z 0
		.amdhsa_system_sgpr_workgroup_info 0
		.amdhsa_system_vgpr_workitem_id 0
		.amdhsa_next_free_vgpr 102
		.amdhsa_next_free_sgpr 92
		.amdhsa_named_barrier_count 0
		.amdhsa_reserve_vcc 0
		.amdhsa_float_round_mode_32 0
		.amdhsa_float_round_mode_16_64 0
		.amdhsa_float_denorm_mode_32 3
		.amdhsa_float_denorm_mode_16_64 3
		.amdhsa_fp16_overflow 0
		.amdhsa_memory_ordered 1
		.amdhsa_forward_progress 1
		.amdhsa_inst_pref_size 21
		.amdhsa_round_robin_scheduling 0
		.amdhsa_exception_fp_ieee_invalid_op 0
		.amdhsa_exception_fp_denorm_src 0
		.amdhsa_exception_fp_ieee_div_zero 0
		.amdhsa_exception_fp_ieee_overflow 0
		.amdhsa_exception_fp_ieee_underflow 0
		.amdhsa_exception_fp_ieee_inexact 0
		.amdhsa_exception_int_div_zero 0
	.end_amdhsa_kernel
	.text
.Lfunc_end22:
	.size	_Z43comm_manual_aosoa_constants_direct_prefetchPK15HIP_vector_typeIfLj2EEPS0_S2_, .Lfunc_end22-_Z43comm_manual_aosoa_constants_direct_prefetchPK15HIP_vector_typeIfLj2EEPS0_S2_
                                        ; -- End function
	.set _Z43comm_manual_aosoa_constants_direct_prefetchPK15HIP_vector_typeIfLj2EEPS0_S2_.num_vgpr, 102
	.set _Z43comm_manual_aosoa_constants_direct_prefetchPK15HIP_vector_typeIfLj2EEPS0_S2_.num_agpr, 0
	.set _Z43comm_manual_aosoa_constants_direct_prefetchPK15HIP_vector_typeIfLj2EEPS0_S2_.numbered_sgpr, 92
	.set _Z43comm_manual_aosoa_constants_direct_prefetchPK15HIP_vector_typeIfLj2EEPS0_S2_.num_named_barrier, 0
	.set _Z43comm_manual_aosoa_constants_direct_prefetchPK15HIP_vector_typeIfLj2EEPS0_S2_.private_seg_size, 0
	.set _Z43comm_manual_aosoa_constants_direct_prefetchPK15HIP_vector_typeIfLj2EEPS0_S2_.uses_vcc, 0
	.set _Z43comm_manual_aosoa_constants_direct_prefetchPK15HIP_vector_typeIfLj2EEPS0_S2_.uses_flat_scratch, 0
	.set _Z43comm_manual_aosoa_constants_direct_prefetchPK15HIP_vector_typeIfLj2EEPS0_S2_.has_dyn_sized_stack, 0
	.set _Z43comm_manual_aosoa_constants_direct_prefetchPK15HIP_vector_typeIfLj2EEPS0_S2_.has_recursion, 0
	.set _Z43comm_manual_aosoa_constants_direct_prefetchPK15HIP_vector_typeIfLj2EEPS0_S2_.has_indirect_call, 0
	.section	.AMDGPU.csdata,"",@progbits
; Kernel info:
; codeLenInByte = 2580
; TotalNumSgprs: 92
; NumVgprs: 102
; ScratchSize: 0
; MemoryBound: 1
; FloatMode: 240
; IeeeMode: 1
; LDSByteSize: 0 bytes/workgroup (compile time only)
; SGPRBlocks: 0
; VGPRBlocks: 6
; NumSGPRsForWavesPerEU: 92
; NumVGPRsForWavesPerEU: 102
; NamedBarCnt: 0
; Occupancy: 9
; WaveLimiterHint : 1
; COMPUTE_PGM_RSRC2:SCRATCH_EN: 0
; COMPUTE_PGM_RSRC2:USER_SGPR: 2
; COMPUTE_PGM_RSRC2:TRAP_HANDLER: 0
; COMPUTE_PGM_RSRC2:TGID_X_EN: 1
; COMPUTE_PGM_RSRC2:TGID_Y_EN: 0
; COMPUTE_PGM_RSRC2:TGID_Z_EN: 0
; COMPUTE_PGM_RSRC2:TIDIG_COMP_CNT: 0
	.text
	.protected	_Z39comm_manual_aosoa_constants_direct_permPK15HIP_vector_typeIfLj2EEPS0_S2_ ; -- Begin function _Z39comm_manual_aosoa_constants_direct_permPK15HIP_vector_typeIfLj2EEPS0_S2_
	.globl	_Z39comm_manual_aosoa_constants_direct_permPK15HIP_vector_typeIfLj2EEPS0_S2_
	.p2align	8
	.type	_Z39comm_manual_aosoa_constants_direct_permPK15HIP_vector_typeIfLj2EEPS0_S2_,@function
_Z39comm_manual_aosoa_constants_direct_permPK15HIP_vector_typeIfLj2EEPS0_S2_: ; @_Z39comm_manual_aosoa_constants_direct_permPK15HIP_vector_typeIfLj2EEPS0_S2_
; %bb.0:
	s_load_b32 s2, s[0:1], 0x24
	s_bfe_u32 s3, ttmp6, 0x4000c
	s_and_b32 s4, ttmp6, 15
	s_add_co_i32 s3, s3, 1
	s_getreg_b32 s5, hwreg(HW_REG_IB_STS2, 6, 4)
	s_mul_i32 s3, ttmp9, s3
	s_mov_b64 s[22:23], 0xc4
	s_add_co_i32 s4, s4, s3
	s_mov_b64 s[24:25], 0xffffffffffffff3c
	s_mov_b32 s15, 0
	s_wait_kmcnt 0x0
	s_and_b32 s2, s2, 0xffff
	s_cmp_eq_u32 s5, 0
	s_cselect_b32 s3, ttmp9, s4
	s_clause 0x1
	s_load_b128 s[4:7], s[0:1], 0x0
	s_load_b64 s[20:21], s[0:1], 0x10
	v_mad_u32 v0, s3, s2, v0
	s_delay_alu instid0(VALU_DEP_1) | instskip(SKIP_2) | instid1(VALU_DEP_1)
	v_mul_lo_u32 v92, 0x62, v0
	s_wait_kmcnt 0x0
	s_add_nc_u64 s[26:27], s[4:5], 16
	v_mov_b32_e32 v72, v92
.LBB23_1:                               ; =>This Loop Header: Depth=1
                                        ;     Child Loop BB23_2 Depth 2
	v_mad_u32 v58, s15, 14, v92
	s_mov_b64 s[28:29], 0
	s_mov_b64 s[30:31], s[22:23]
	s_delay_alu instid0(VALU_DEP_2) | instskip(NEXT) | instid1(VALU_DEP_1)
	v_dual_ashrrev_i32 v73, 31, v72 :: v_dual_mov_b32 v93, v92
	v_lshl_add_u64 v[88:89], v[72:73], 4, s[26:27]
	s_delay_alu instid0(VALU_DEP_3)
	v_dual_add_nc_u32 v56, 2, v58 :: v_dual_add_nc_u32 v60, 4, v58
	v_dual_add_nc_u32 v62, 6, v58 :: v_dual_add_nc_u32 v64, 8, v58
	s_wait_xcnt 0xe
	v_dual_add_nc_u32 v66, 10, v58 :: v_dual_add_nc_u32 v68, 12, v58
	s_clause 0xd
	global_load_b128 v[20:23], v58, s[6:7] offset:16 scale_offset
	global_load_b128 v[0:3], v58, s[6:7] scale_offset
	global_load_b128 v[8:11], v56, s[6:7] offset:16 scale_offset
	global_load_b128 v[4:7], v56, s[6:7] scale_offset
	;; [unrolled: 2-line block ×7, first 2 shown]
	v_dual_ashrrev_i32 v59, 31, v58 :: v_dual_ashrrev_i32 v57, 31, v56
	v_dual_ashrrev_i32 v63, 31, v62 :: v_dual_ashrrev_i32 v61, 31, v60
	;; [unrolled: 1-line block ×3, first 2 shown]
	v_ashrrev_i32_e32 v69, 31, v68
	s_delay_alu instid0(VALU_DEP_4)
	v_lshl_add_u64 v[76:77], v[58:59], 4, s[6:7]
	v_lshl_add_u64 v[86:87], v[56:57], 4, s[6:7]
	;; [unrolled: 1-line block ×7, first 2 shown]
.LBB23_2:                               ;   Parent Loop BB23_1 Depth=1
                                        ; =>  This Inner Loop Header: Depth=2
	s_add_nc_u64 s[0:1], s[20:21], s[30:31]
	s_add_nc_u64 s[38:39], s[20:21], s[28:29]
	;; [unrolled: 1-line block ×4, first 2 shown]
	s_clause 0x1
	s_load_b32 s36, s[2:3], 0x0
	s_load_b32 s34, s[0:1], 0x0
	s_clause 0x1
	global_load_b128 v[56:59], v[88:89], off
	global_load_b128 v[60:63], v[88:89], off offset:-16
	s_clause 0x1
	global_load_b128 v[64:67], v93, s[4:5] offset:16 scale_offset
	global_load_b128 v[68:71], v93, s[4:5] scale_offset
	s_clause 0x3
	s_load_b128 s[0:3], s[38:39], 0x0
	s_load_b96 s[16:18], s[38:39], 0x10
	s_load_b96 s[12:14], s[38:39], 0xd4
	s_load_b128 s[8:11], s[38:39], 0xc4
	v_add_nc_u64_e32 v[88:89], 32, v[88:89]
	s_add_nc_u64 s[30:31], s[30:31], 4
	s_cmp_eq_u32 s28, 0xc4
	s_wait_kmcnt 0x0
	v_mov_b64_e32 v[94:95], s[0:1]
	v_mov_b64_e32 v[96:97], s[8:9]
	s_wait_loadcnt 0x3
	v_xor_b32_e32 v59, 0x80000000, v59
	s_wait_loadcnt 0x2
	v_xor_b32_e32 v91, 0x80000000, v63
	s_wait_loadcnt 0x1
	v_pk_fma_f32 v[0:1], s[36:37], v[64:65], v[0:1] op_sel_hi:[0,1,1]
	s_wait_loadcnt 0x0
	v_pk_fma_f32 v[22:23], s[36:37], v[70:71], v[22:23] op_sel_hi:[0,1,1] neg_lo:[1,0,0] neg_hi:[1,0,0]
	v_pk_fma_f32 v[20:21], s[36:37], v[68:69], v[20:21] op_sel_hi:[0,1,1] neg_lo:[1,0,0] neg_hi:[1,0,0]
	v_pk_fma_f32 v[2:3], s[36:37], v[66:67], v[2:3] op_sel_hi:[0,1,1]
	v_xor_b32_e32 v90, 0x80000000, v62
	v_pk_fma_f32 v[0:1], v[60:61], s[8:9], v[0:1] op_sel_hi:[1,0,1] neg_lo:[1,0,0] neg_hi:[1,0,0]
	v_pk_fma_f32 v[22:23], v[62:63], s[0:1], v[22:23] op_sel_hi:[1,0,1]
	v_pk_fma_f32 v[20:21], v[60:61], s[0:1], v[20:21] op_sel_hi:[1,0,1]
	v_xor_b32_e32 v58, 0x80000000, v58
	v_pk_fma_f32 v[2:3], v[90:91], s[8:9], v[2:3] op_sel_hi:[1,0,1]
	v_pk_fma_f32 v[0:1], s[34:35], v[68:69], v[0:1] op_sel_hi:[0,1,1]
	v_add_nc_u32_e32 v68, 2, v93
	v_pk_fma_f32 v[22:23], s[34:35], v[66:67], v[22:23] op_sel_hi:[0,1,1]
	v_pk_fma_f32 v[20:21], s[34:35], v[64:65], v[20:21] op_sel_hi:[0,1,1]
	;; [unrolled: 1-line block ×3, first 2 shown]
	s_clause 0x1
	global_load_b128 v[64:67], v68, s[4:5] offset:16 scale_offset
	global_load_b128 v[68:71], v68, s[4:5] scale_offset
	v_pk_fma_f32 v[0:1], v[56:57], s[0:1], v[0:1] op_sel_hi:[1,0,1] neg_lo:[1,0,0] neg_hi:[1,0,0]
	v_pk_fma_f32 v[22:23], v[58:59], s[8:9], v[22:23] op_sel_hi:[1,0,1]
	v_pk_fma_f32 v[2:3], v[58:59], s[0:1], v[2:3] op_sel_hi:[1,0,1]
	s_mov_b32 s0, s3
	v_pk_fma_f32 v[20:21], v[56:57], s[8:9], v[20:21] op_sel_hi:[1,0,1] neg_lo:[1,0,0] neg_hi:[1,0,0]
	s_wait_loadcnt 0x1
	v_pk_fma_f32 v[4:5], s[36:37], v[64:65], v[4:5] op_sel_hi:[0,1,1]
	s_wait_loadcnt 0x0
	v_pk_fma_f32 v[10:11], s[36:37], v[70:71], v[10:11] op_sel_hi:[0,1,1] neg_lo:[1,0,0] neg_hi:[1,0,0]
	v_pk_fma_f32 v[8:9], s[36:37], v[68:69], v[8:9] op_sel_hi:[0,1,1] neg_lo:[1,0,0] neg_hi:[1,0,0]
	v_pk_fma_f32 v[6:7], s[36:37], v[66:67], v[6:7] op_sel_hi:[0,1,1]
	v_pk_fma_f32 v[4:5], v[60:61], v[96:97], v[4:5] op_sel:[0,1,0] neg_lo:[1,0,0] neg_hi:[1,0,0]
	s_delay_alu instid0(VALU_DEP_4) | instskip(NEXT) | instid1(VALU_DEP_4)
	v_pk_fma_f32 v[10:11], v[62:63], v[94:95], v[10:11] op_sel:[0,1,0]
	v_pk_fma_f32 v[8:9], v[60:61], v[94:95], v[8:9] op_sel:[0,1,0]
	s_delay_alu instid0(VALU_DEP_4) | instskip(NEXT) | instid1(VALU_DEP_4)
	v_pk_fma_f32 v[6:7], v[90:91], v[96:97], v[6:7] op_sel:[0,1,0]
	v_pk_fma_f32 v[4:5], s[34:35], v[68:69], v[4:5] op_sel_hi:[0,1,1]
	s_wait_xcnt 0x0
	v_add_nc_u32_e32 v68, 4, v93
	v_pk_fma_f32 v[10:11], s[34:35], v[66:67], v[10:11] op_sel_hi:[0,1,1]
	v_pk_fma_f32 v[8:9], s[34:35], v[64:65], v[8:9] op_sel_hi:[0,1,1]
	v_pk_fma_f32 v[6:7], s[34:35], v[70:71], v[6:7] op_sel_hi:[0,1,1]
	s_clause 0x1
	global_load_b128 v[64:67], v68, s[4:5] offset:16 scale_offset
	global_load_b128 v[68:71], v68, s[4:5] scale_offset
	v_pk_fma_f32 v[10:11], v[58:59], v[96:97], v[10:11] op_sel:[0,1,0]
	v_pk_fma_f32 v[8:9], v[56:57], v[96:97], v[8:9] op_sel:[0,1,0] neg_lo:[1,0,0] neg_hi:[1,0,0]
	v_mov_b64_e32 v[96:97], s[12:13]
	v_pk_fma_f32 v[6:7], v[58:59], v[94:95], v[6:7] op_sel:[0,1,0]
	v_pk_fma_f32 v[4:5], v[56:57], v[94:95], v[4:5] op_sel:[0,1,0] neg_lo:[1,0,0] neg_hi:[1,0,0]
	v_mov_b64_e32 v[94:95], s[16:17]
	s_wait_loadcnt 0x1
	v_pk_fma_f32 v[12:13], s[36:37], v[64:65], v[12:13] op_sel_hi:[0,1,1]
	s_wait_loadcnt 0x0
	v_pk_fma_f32 v[18:19], s[36:37], v[70:71], v[18:19] op_sel_hi:[0,1,1] neg_lo:[1,0,0] neg_hi:[1,0,0]
	v_pk_fma_f32 v[16:17], s[36:37], v[68:69], v[16:17] op_sel_hi:[0,1,1] neg_lo:[1,0,0] neg_hi:[1,0,0]
	v_pk_fma_f32 v[14:15], s[36:37], v[66:67], v[14:15] op_sel_hi:[0,1,1]
	v_pk_fma_f32 v[12:13], v[60:61], s[10:11], v[12:13] op_sel_hi:[1,0,1] neg_lo:[1,0,0] neg_hi:[1,0,0]
	s_delay_alu instid0(VALU_DEP_4) | instskip(NEXT) | instid1(VALU_DEP_4)
	v_pk_fma_f32 v[18:19], v[62:63], s[2:3], v[18:19] op_sel_hi:[1,0,1]
	v_pk_fma_f32 v[16:17], v[60:61], s[2:3], v[16:17] op_sel_hi:[1,0,1]
	s_delay_alu instid0(VALU_DEP_4) | instskip(NEXT) | instid1(VALU_DEP_4)
	v_pk_fma_f32 v[14:15], v[90:91], s[10:11], v[14:15] op_sel_hi:[1,0,1]
	v_pk_fma_f32 v[12:13], s[34:35], v[68:69], v[12:13] op_sel_hi:[0,1,1]
	s_wait_xcnt 0x0
	v_add_nc_u32_e32 v68, 6, v93
	v_pk_fma_f32 v[18:19], s[34:35], v[66:67], v[18:19] op_sel_hi:[0,1,1]
	v_pk_fma_f32 v[16:17], s[34:35], v[64:65], v[16:17] op_sel_hi:[0,1,1]
	;; [unrolled: 1-line block ×3, first 2 shown]
	s_clause 0x1
	global_load_b128 v[64:67], v68, s[4:5] offset:16 scale_offset
	global_load_b128 v[68:71], v68, s[4:5] scale_offset
	v_pk_fma_f32 v[12:13], v[56:57], s[2:3], v[12:13] op_sel_hi:[1,0,1] neg_lo:[1,0,0] neg_hi:[1,0,0]
	v_pk_fma_f32 v[18:19], v[58:59], s[10:11], v[18:19] op_sel_hi:[1,0,1]
	v_pk_fma_f32 v[14:15], v[58:59], s[2:3], v[14:15] op_sel_hi:[1,0,1]
	s_mov_b32 s2, s11
	v_pk_fma_f32 v[16:17], v[56:57], s[10:11], v[16:17] op_sel_hi:[1,0,1] neg_lo:[1,0,0] neg_hi:[1,0,0]
	s_wait_loadcnt 0x1
	v_pk_fma_f32 v[24:25], s[36:37], v[64:65], v[24:25] op_sel_hi:[0,1,1]
	s_wait_loadcnt 0x0
	v_pk_fma_f32 v[30:31], s[36:37], v[70:71], v[30:31] op_sel_hi:[0,1,1] neg_lo:[1,0,0] neg_hi:[1,0,0]
	v_pk_fma_f32 v[28:29], s[36:37], v[68:69], v[28:29] op_sel_hi:[0,1,1] neg_lo:[1,0,0] neg_hi:[1,0,0]
	v_pk_fma_f32 v[26:27], s[36:37], v[66:67], v[26:27] op_sel_hi:[0,1,1]
	v_pk_fma_f32 v[24:25], v[60:61], s[2:3], v[24:25] op_sel_hi:[1,0,1] neg_lo:[1,0,0] neg_hi:[1,0,0]
	s_delay_alu instid0(VALU_DEP_4) | instskip(NEXT) | instid1(VALU_DEP_4)
	v_pk_fma_f32 v[30:31], v[62:63], s[0:1], v[30:31] op_sel_hi:[1,0,1]
	v_pk_fma_f32 v[28:29], v[60:61], s[0:1], v[28:29] op_sel_hi:[1,0,1]
	s_delay_alu instid0(VALU_DEP_4) | instskip(NEXT) | instid1(VALU_DEP_4)
	v_pk_fma_f32 v[26:27], v[90:91], s[2:3], v[26:27] op_sel_hi:[1,0,1]
	v_pk_fma_f32 v[24:25], s[34:35], v[68:69], v[24:25] op_sel_hi:[0,1,1]
	s_wait_xcnt 0x0
	v_add_nc_u32_e32 v68, 8, v93
	v_pk_fma_f32 v[30:31], s[34:35], v[66:67], v[30:31] op_sel_hi:[0,1,1]
	v_pk_fma_f32 v[28:29], s[34:35], v[64:65], v[28:29] op_sel_hi:[0,1,1]
	;; [unrolled: 1-line block ×3, first 2 shown]
	s_clause 0x1
	global_load_b128 v[64:67], v68, s[4:5] offset:16 scale_offset
	global_load_b128 v[68:71], v68, s[4:5] scale_offset
	v_pk_fma_f32 v[30:31], v[58:59], s[2:3], v[30:31] op_sel_hi:[1,0,1]
	v_pk_fma_f32 v[28:29], v[56:57], s[2:3], v[28:29] op_sel_hi:[1,0,1] neg_lo:[1,0,0] neg_hi:[1,0,0]
	v_pk_fma_f32 v[26:27], v[58:59], s[0:1], v[26:27] op_sel_hi:[1,0,1]
	v_pk_fma_f32 v[24:25], v[56:57], s[0:1], v[24:25] op_sel_hi:[1,0,1] neg_lo:[1,0,0] neg_hi:[1,0,0]
	s_mov_b32 s0, s18
	s_mov_b32 s2, s14
	s_wait_loadcnt 0x1
	v_pk_fma_f32 v[36:37], s[36:37], v[64:65], v[36:37] op_sel_hi:[0,1,1]
	s_wait_loadcnt 0x0
	v_pk_fma_f32 v[42:43], s[36:37], v[70:71], v[42:43] op_sel_hi:[0,1,1] neg_lo:[1,0,0] neg_hi:[1,0,0]
	v_pk_fma_f32 v[40:41], s[36:37], v[68:69], v[40:41] op_sel_hi:[0,1,1] neg_lo:[1,0,0] neg_hi:[1,0,0]
	v_pk_fma_f32 v[38:39], s[36:37], v[66:67], v[38:39] op_sel_hi:[0,1,1]
	v_pk_fma_f32 v[36:37], v[60:61], s[12:13], v[36:37] op_sel_hi:[1,0,1] neg_lo:[1,0,0] neg_hi:[1,0,0]
	s_delay_alu instid0(VALU_DEP_4) | instskip(NEXT) | instid1(VALU_DEP_4)
	v_pk_fma_f32 v[42:43], v[62:63], s[16:17], v[42:43] op_sel_hi:[1,0,1]
	v_pk_fma_f32 v[40:41], v[60:61], s[16:17], v[40:41] op_sel_hi:[1,0,1]
	s_delay_alu instid0(VALU_DEP_4) | instskip(NEXT) | instid1(VALU_DEP_4)
	v_pk_fma_f32 v[38:39], v[90:91], s[12:13], v[38:39] op_sel_hi:[1,0,1]
	v_pk_fma_f32 v[36:37], s[34:35], v[68:69], v[36:37] op_sel_hi:[0,1,1]
	s_wait_xcnt 0x0
	v_add_nc_u32_e32 v68, 10, v93
	v_pk_fma_f32 v[42:43], s[34:35], v[66:67], v[42:43] op_sel_hi:[0,1,1]
	v_pk_fma_f32 v[40:41], s[34:35], v[64:65], v[40:41] op_sel_hi:[0,1,1]
	;; [unrolled: 1-line block ×3, first 2 shown]
	s_clause 0x1
	global_load_b128 v[64:67], v68, s[4:5] offset:16 scale_offset
	global_load_b128 v[68:71], v68, s[4:5] scale_offset
	v_pk_fma_f32 v[42:43], v[58:59], s[12:13], v[42:43] op_sel_hi:[1,0,1]
	v_pk_fma_f32 v[40:41], v[56:57], s[12:13], v[40:41] op_sel_hi:[1,0,1] neg_lo:[1,0,0] neg_hi:[1,0,0]
	v_pk_fma_f32 v[38:39], v[58:59], s[16:17], v[38:39] op_sel_hi:[1,0,1]
	v_pk_fma_f32 v[36:37], v[56:57], s[16:17], v[36:37] op_sel_hi:[1,0,1] neg_lo:[1,0,0] neg_hi:[1,0,0]
	s_wait_loadcnt 0x1
	v_pk_fma_f32 v[32:33], s[36:37], v[64:65], v[32:33] op_sel_hi:[0,1,1]
	s_wait_loadcnt 0x0
	v_pk_fma_f32 v[46:47], s[36:37], v[70:71], v[46:47] op_sel_hi:[0,1,1] neg_lo:[1,0,0] neg_hi:[1,0,0]
	v_pk_fma_f32 v[44:45], s[36:37], v[68:69], v[44:45] op_sel_hi:[0,1,1] neg_lo:[1,0,0] neg_hi:[1,0,0]
	v_pk_fma_f32 v[34:35], s[36:37], v[66:67], v[34:35] op_sel_hi:[0,1,1]
	v_pk_fma_f32 v[32:33], v[60:61], v[96:97], v[32:33] op_sel:[0,1,0] neg_lo:[1,0,0] neg_hi:[1,0,0]
	s_delay_alu instid0(VALU_DEP_4) | instskip(NEXT) | instid1(VALU_DEP_4)
	v_pk_fma_f32 v[46:47], v[62:63], v[94:95], v[46:47] op_sel:[0,1,0]
	v_pk_fma_f32 v[44:45], v[60:61], v[94:95], v[44:45] op_sel:[0,1,0]
	s_delay_alu instid0(VALU_DEP_4) | instskip(NEXT) | instid1(VALU_DEP_4)
	v_pk_fma_f32 v[34:35], v[90:91], v[96:97], v[34:35] op_sel:[0,1,0]
	v_pk_fma_f32 v[32:33], s[34:35], v[68:69], v[32:33] op_sel_hi:[0,1,1]
	s_wait_xcnt 0x0
	v_add_nc_u32_e32 v68, 12, v93
	v_pk_fma_f32 v[46:47], s[34:35], v[66:67], v[46:47] op_sel_hi:[0,1,1]
	v_pk_fma_f32 v[44:45], s[34:35], v[64:65], v[44:45] op_sel_hi:[0,1,1]
	;; [unrolled: 1-line block ×3, first 2 shown]
	s_clause 0x1
	global_load_b128 v[64:67], v68, s[4:5] offset:16 scale_offset
	global_load_b128 v[68:71], v68, s[4:5] scale_offset
	v_pk_fma_f32 v[46:47], v[58:59], v[96:97], v[46:47] op_sel:[0,1,0]
	v_pk_fma_f32 v[44:45], v[56:57], v[96:97], v[44:45] op_sel:[0,1,0] neg_lo:[1,0,0] neg_hi:[1,0,0]
	v_pk_fma_f32 v[34:35], v[58:59], v[94:95], v[34:35] op_sel:[0,1,0]
	v_pk_fma_f32 v[32:33], v[56:57], v[94:95], v[32:33] op_sel:[0,1,0] neg_lo:[1,0,0] neg_hi:[1,0,0]
	v_add_nc_u32_e32 v93, 14, v93
	s_wait_loadcnt 0x1
	v_pk_fma_f32 v[48:49], s[36:37], v[64:65], v[48:49] op_sel_hi:[0,1,1]
	s_wait_loadcnt 0x0
	v_pk_fma_f32 v[54:55], s[36:37], v[70:71], v[54:55] op_sel_hi:[0,1,1] neg_lo:[1,0,0] neg_hi:[1,0,0]
	v_pk_fma_f32 v[52:53], s[36:37], v[68:69], v[52:53] op_sel_hi:[0,1,1] neg_lo:[1,0,0] neg_hi:[1,0,0]
	v_pk_fma_f32 v[50:51], s[36:37], v[66:67], v[50:51] op_sel_hi:[0,1,1]
	v_pk_fma_f32 v[48:49], v[60:61], s[2:3], v[48:49] op_sel_hi:[1,0,1] neg_lo:[1,0,0] neg_hi:[1,0,0]
	s_delay_alu instid0(VALU_DEP_4) | instskip(NEXT) | instid1(VALU_DEP_4)
	v_pk_fma_f32 v[54:55], v[62:63], s[0:1], v[54:55] op_sel_hi:[1,0,1]
	v_pk_fma_f32 v[52:53], v[60:61], s[0:1], v[52:53] op_sel_hi:[1,0,1]
	s_delay_alu instid0(VALU_DEP_4) | instskip(NEXT) | instid1(VALU_DEP_4)
	v_pk_fma_f32 v[50:51], v[90:91], s[2:3], v[50:51] op_sel_hi:[1,0,1]
	v_pk_fma_f32 v[48:49], s[34:35], v[68:69], v[48:49] op_sel_hi:[0,1,1]
	;; [unrolled: 3-line block ×3, first 2 shown]
	s_delay_alu instid0(VALU_DEP_4) | instskip(NEXT) | instid1(VALU_DEP_4)
	v_pk_fma_f32 v[50:51], s[34:35], v[70:71], v[50:51] op_sel_hi:[0,1,1]
	v_pk_fma_f32 v[48:49], v[56:57], s[0:1], v[48:49] op_sel_hi:[1,0,1] neg_lo:[1,0,0] neg_hi:[1,0,0]
	s_delay_alu instid0(VALU_DEP_4) | instskip(NEXT) | instid1(VALU_DEP_4)
	v_pk_fma_f32 v[54:55], v[58:59], s[2:3], v[54:55] op_sel_hi:[1,0,1]
	v_pk_fma_f32 v[52:53], v[56:57], s[2:3], v[52:53] op_sel_hi:[1,0,1] neg_lo:[1,0,0] neg_hi:[1,0,0]
	s_delay_alu instid0(VALU_DEP_4)
	v_pk_fma_f32 v[50:51], v[58:59], s[0:1], v[50:51] op_sel_hi:[1,0,1]
	s_cbranch_scc0 .LBB23_2
; %bb.3:                                ;   in Loop: Header=BB23_1 Depth=1
	v_add_nc_u32_e32 v72, 14, v72
	s_add_co_i32 s15, s15, 1
	s_add_nc_u64 s[22:23], s[22:23], 28
	s_cmp_eq_u32 s15, 7
	s_clause 0xd
	global_store_b128 v[76:77], v[20:23], off offset:16
	global_store_b128 v[76:77], v[0:3], off
	global_store_b128 v[86:87], v[8:11], off offset:16
	global_store_b128 v[86:87], v[4:7], off
	;; [unrolled: 2-line block ×7, first 2 shown]
	s_cbranch_scc0 .LBB23_1
; %bb.4:
	s_sendmsg sendmsg(MSG_DEALLOC_VGPRS)
	s_endpgm
	.section	.rodata,"a",@progbits
	.p2align	6, 0x0
	.amdhsa_kernel _Z39comm_manual_aosoa_constants_direct_permPK15HIP_vector_typeIfLj2EEPS0_S2_
		.amdhsa_group_segment_fixed_size 0
		.amdhsa_private_segment_fixed_size 0
		.amdhsa_kernarg_size 280
		.amdhsa_user_sgpr_count 2
		.amdhsa_user_sgpr_dispatch_ptr 0
		.amdhsa_user_sgpr_queue_ptr 0
		.amdhsa_user_sgpr_kernarg_segment_ptr 1
		.amdhsa_user_sgpr_dispatch_id 0
		.amdhsa_user_sgpr_kernarg_preload_length 0
		.amdhsa_user_sgpr_kernarg_preload_offset 0
		.amdhsa_user_sgpr_private_segment_size 0
		.amdhsa_wavefront_size32 1
		.amdhsa_uses_dynamic_stack 0
		.amdhsa_enable_private_segment 0
		.amdhsa_system_sgpr_workgroup_id_x 1
		.amdhsa_system_sgpr_workgroup_id_y 0
		.amdhsa_system_sgpr_workgroup_id_z 0
		.amdhsa_system_sgpr_workgroup_info 0
		.amdhsa_system_vgpr_workitem_id 0
		.amdhsa_next_free_vgpr 98
		.amdhsa_next_free_sgpr 40
		.amdhsa_named_barrier_count 0
		.amdhsa_reserve_vcc 0
		.amdhsa_float_round_mode_32 0
		.amdhsa_float_round_mode_16_64 0
		.amdhsa_float_denorm_mode_32 3
		.amdhsa_float_denorm_mode_16_64 3
		.amdhsa_fp16_overflow 0
		.amdhsa_memory_ordered 1
		.amdhsa_forward_progress 1
		.amdhsa_inst_pref_size 17
		.amdhsa_round_robin_scheduling 0
		.amdhsa_exception_fp_ieee_invalid_op 0
		.amdhsa_exception_fp_denorm_src 0
		.amdhsa_exception_fp_ieee_div_zero 0
		.amdhsa_exception_fp_ieee_overflow 0
		.amdhsa_exception_fp_ieee_underflow 0
		.amdhsa_exception_fp_ieee_inexact 0
		.amdhsa_exception_int_div_zero 0
	.end_amdhsa_kernel
	.text
.Lfunc_end23:
	.size	_Z39comm_manual_aosoa_constants_direct_permPK15HIP_vector_typeIfLj2EEPS0_S2_, .Lfunc_end23-_Z39comm_manual_aosoa_constants_direct_permPK15HIP_vector_typeIfLj2EEPS0_S2_
                                        ; -- End function
	.set _Z39comm_manual_aosoa_constants_direct_permPK15HIP_vector_typeIfLj2EEPS0_S2_.num_vgpr, 98
	.set _Z39comm_manual_aosoa_constants_direct_permPK15HIP_vector_typeIfLj2EEPS0_S2_.num_agpr, 0
	.set _Z39comm_manual_aosoa_constants_direct_permPK15HIP_vector_typeIfLj2EEPS0_S2_.numbered_sgpr, 40
	.set _Z39comm_manual_aosoa_constants_direct_permPK15HIP_vector_typeIfLj2EEPS0_S2_.num_named_barrier, 0
	.set _Z39comm_manual_aosoa_constants_direct_permPK15HIP_vector_typeIfLj2EEPS0_S2_.private_seg_size, 0
	.set _Z39comm_manual_aosoa_constants_direct_permPK15HIP_vector_typeIfLj2EEPS0_S2_.uses_vcc, 0
	.set _Z39comm_manual_aosoa_constants_direct_permPK15HIP_vector_typeIfLj2EEPS0_S2_.uses_flat_scratch, 0
	.set _Z39comm_manual_aosoa_constants_direct_permPK15HIP_vector_typeIfLj2EEPS0_S2_.has_dyn_sized_stack, 0
	.set _Z39comm_manual_aosoa_constants_direct_permPK15HIP_vector_typeIfLj2EEPS0_S2_.has_recursion, 0
	.set _Z39comm_manual_aosoa_constants_direct_permPK15HIP_vector_typeIfLj2EEPS0_S2_.has_indirect_call, 0
	.section	.AMDGPU.csdata,"",@progbits
; Kernel info:
; codeLenInByte = 2144
; TotalNumSgprs: 40
; NumVgprs: 98
; ScratchSize: 0
; MemoryBound: 1
; FloatMode: 240
; IeeeMode: 1
; LDSByteSize: 0 bytes/workgroup (compile time only)
; SGPRBlocks: 0
; VGPRBlocks: 6
; NumSGPRsForWavesPerEU: 40
; NumVGPRsForWavesPerEU: 98
; NamedBarCnt: 0
; Occupancy: 9
; WaveLimiterHint : 1
; COMPUTE_PGM_RSRC2:SCRATCH_EN: 0
; COMPUTE_PGM_RSRC2:USER_SGPR: 2
; COMPUTE_PGM_RSRC2:TRAP_HANDLER: 0
; COMPUTE_PGM_RSRC2:TGID_X_EN: 1
; COMPUTE_PGM_RSRC2:TGID_Y_EN: 0
; COMPUTE_PGM_RSRC2:TGID_Z_EN: 0
; COMPUTE_PGM_RSRC2:TIDIG_COMP_CNT: 0
	.text
	.protected	_Z16final_gpu_kernelPK15HIP_vector_typeIfLj2EEPS0_S2_i ; -- Begin function _Z16final_gpu_kernelPK15HIP_vector_typeIfLj2EEPS0_S2_i
	.globl	_Z16final_gpu_kernelPK15HIP_vector_typeIfLj2EEPS0_S2_i
	.p2align	8
	.type	_Z16final_gpu_kernelPK15HIP_vector_typeIfLj2EEPS0_S2_i,@function
_Z16final_gpu_kernelPK15HIP_vector_typeIfLj2EEPS0_S2_i: ; @_Z16final_gpu_kernelPK15HIP_vector_typeIfLj2EEPS0_S2_i
; %bb.0:
	v_and_b32_e32 v1, 0x3ff, v0
	v_bfe_u32 v0, v0, 10, 10
	s_delay_alu instid0(VALU_DEP_2) | instskip(NEXT) | instid1(VALU_DEP_2)
	v_cmp_gt_u32_e32 vcc_lo, 49, v1
	v_cmp_eq_u32_e64 s2, 0, v0
	v_lshlrev_b32_e32 v2, 2, v1
	s_and_b32 s3, vcc_lo, s2
	s_delay_alu instid0(SALU_CYCLE_1)
	s_and_saveexec_b32 s2, s3
	s_cbranch_execz .LBB24_2
; %bb.1:
	s_load_b64 s[4:5], s[0:1], 0x10
	v_add_nc_u32_e32 v3, 0x400, v2
	s_wait_kmcnt 0x0
	global_load_b64 v[4:5], v1, s[4:5] scale_offset
	s_wait_loadcnt 0x0
	ds_store_2addr_b32 v3, v5, v4 offset0:136 offset1:188
.LBB24_2:
	s_or_b32 exec_lo, exec_lo, s2
	s_load_b32 s8, s[0:1], 0x18
	s_bfe_u32 s2, ttmp6, 0x4000c
	s_and_b32 s3, ttmp6, 15
	s_add_co_i32 s2, s2, 1
	v_lshlrev_b32_e32 v3, 4, v0
	s_mul_i32 s2, ttmp9, s2
	s_mov_b32 s4, exec_lo
	s_add_co_i32 s3, s3, s2
	s_getreg_b32 s2, hwreg(HW_REG_IB_STS2, 6, 4)
	s_delay_alu instid0(SALU_CYCLE_1) | instskip(SKIP_1) | instid1(SALU_CYCLE_1)
	s_cmp_eq_u32 s2, 0
	s_cselect_b32 s3, ttmp9, s3
	v_lshl_add_u32 v32, s3, 5, v3
	s_wait_kmcnt 0x0
	s_delay_alu instid0(VALU_DEP_1)
	v_cmpx_gt_i32_e64 s8, v32
	s_cbranch_execz .LBB24_9
; %bb.3:
	v_mul_u32_u24_e32 v3, 0x2493, v1
	s_load_b128 s[4:7], s[0:1], 0x0
	s_wait_xcnt 0x0
	s_movk_i32 s0, 0xc4
	v_mad_u32_u24 v34, 0xc4, v0, v2
	v_mad_u32_u24 v4, v0, s0, 0x310
	v_lshrrev_b32_e32 v3, 16, v3
	v_mul_u32_u24_e32 v6, 0x310, v0
	s_mulk_i32 s3, 0x620
	v_add_min_i32_e64 v33, v32, 16, s8
	v_add_nc_u32_e32 v35, v4, v2
	v_mul_lo_u16 v3, v3, 7
	v_add3_u32 v44, v1, s3, v6
	s_mov_b32 s1, 0
                                        ; implicit-def: $vgpr6
	s_delay_alu instid0(VALU_DEP_2) | instskip(NEXT) | instid1(VALU_DEP_1)
	v_sub_nc_u16 v3, v1, v3
	v_and_b32_e32 v3, 0xffff, v3
	s_delay_alu instid0(VALU_DEP_1) | instskip(NEXT) | instid1(VALU_DEP_1)
	v_dual_sub_nc_u32 v5, v1, v3 :: v_dual_lshlrev_b32 v3, 2, v3
	v_dual_lshlrev_b32 v2, 2, v5 :: v_dual_add_nc_u32 v36, v4, v3
	v_mad_u32_u24 v37, 0xc4, v0, v3
	v_add_nc_u32_e32 v38, 0x6f0, v3
	v_add_nc_u32_e32 v39, 0x620, v3
	s_delay_alu instid0(VALU_DEP_4)
	v_add_nc_u32_e32 v40, 0x6f0, v2
	v_add_nc_u32_e32 v41, 0x620, v2
	;; [unrolled: 1-line block ×3, first 2 shown]
	v_mad_u32_u24 v43, 0xc4, v0, v2
                                        ; implicit-def: $vgpr4
	s_branch .LBB24_5
.LBB24_4:                               ;   in Loop: Header=BB24_5 Depth=1
	s_wait_xcnt 0x0
	s_or_b32 exec_lo, exec_lo, s0
	v_dual_add_nc_u32 v32, 2, v32 :: v_dual_mov_b32 v4, v2
	v_dual_mov_b32 v5, v0 :: v_dual_add_nc_u32 v44, 0x62, v44
	v_dual_mov_b32 v6, v3 :: v_dual_mov_b32 v7, v1
	s_delay_alu instid0(VALU_DEP_3) | instskip(SKIP_1) | instid1(SALU_CYCLE_1)
	v_cmp_ge_i32_e64 s0, v32, v33
	s_or_b32 s1, s0, s1
	s_and_not1_b32 exec_lo, exec_lo, s1
	s_cbranch_execz .LBB24_9
.LBB24_5:                               ; =>This Inner Loop Header: Depth=1
	v_dual_add_nc_u32 v45, 49, v44 :: v_dual_mov_b32 v3, v6
	v_dual_mov_b32 v1, v7 :: v_dual_mov_b32 v2, v4
	v_mov_b32_e32 v0, v5
	s_wait_dscnt 0x0
	s_barrier_signal -1
	s_barrier_wait -1
	s_and_saveexec_b32 s0, vcc_lo
	s_cbranch_execz .LBB24_7
; %bb.6:                                ;   in Loop: Header=BB24_5 Depth=1
	s_wait_kmcnt 0x0
	s_clause 0x1
	global_load_b64 v[2:3], v44, s[6:7] scale_offset
	global_load_b64 v[0:1], v45, s[6:7] scale_offset
	s_clause 0x1
	global_load_b64 v[8:9], v44, s[4:5] scale_offset
	global_load_b64 v[10:11], v45, s[4:5] scale_offset
	s_wait_loadcnt 0x0
	ds_store_2addr_b32 v35, v8, v10 offset1:98
	ds_store_2addr_b32 v34, v9, v11 offset1:98
	v_dual_mov_b32 v4, v2 :: v_dual_mov_b32 v5, v0
	v_dual_mov_b32 v6, v3 :: v_dual_mov_b32 v7, v1
.LBB24_7:                               ;   in Loop: Header=BB24_5 Depth=1
	s_wait_xcnt 0x0
	s_or_b32 exec_lo, exec_lo, s0
	s_wait_dscnt 0x0
	s_barrier_signal -1
	s_barrier_wait -1
	s_and_saveexec_b32 s0, vcc_lo
	s_cbranch_execz .LBB24_4
; %bb.8:                                ;   in Loop: Header=BB24_5 Depth=1
	ds_load_2addr_b32 v[10:11], v37 offset1:7
	ds_load_2addr_b32 v[0:1], v37 offset0:42 offset1:98
	ds_load_2addr_b32 v[14:15], v36 offset1:7
	ds_load_2addr_b32 v[2:3], v36 offset0:42 offset1:98
	ds_load_2addr_b32 v[16:17], v40 offset1:1
	ds_load_2addr_b32 v[18:19], v41 offset1:1
	;; [unrolled: 1-line block ×3, first 2 shown]
	ds_load_2addr_b32 v[8:9], v42 offset0:98 offset1:99
	ds_load_2addr_b32 v[22:23], v43 offset1:1
	ds_load_2addr_b32 v[12:13], v43 offset0:98 offset1:99
	ds_load_2addr_b32 v[24:25], v42 offset0:2 offset1:3
	;; [unrolled: 1-line block ×5, first 2 shown]
	s_wait_dscnt 0xc
	v_dual_mov_b32 v48, v10 :: v_dual_mov_b32 v49, v1
	s_wait_dscnt 0xa
	v_dual_mov_b32 v52, v14 :: v_dual_mov_b32 v53, v3
	ds_load_2addr_b32 v[50:51], v40 offset0:2 offset1:3
	ds_load_2addr_b32 v[30:31], v40 offset0:4 offset1:5
	ds_load_b32 v10, v40 offset:24
	v_mov_b32_e32 v14, v15
	s_wait_dscnt 0xc
	v_pk_fma_f32 v[54:55], v[48:49], v[16:17], v[4:5] op_sel_hi:[1,0,1]
	ds_load_2addr_b32 v[56:57], v41 offset0:2 offset1:3
	ds_load_2addr_b32 v[58:59], v41 offset0:4 offset1:5
	ds_load_b32 v4, v41 offset:24
	v_pk_fma_f32 v[6:7], v[52:53], v[16:17], v[6:7] op_sel_hi:[1,0,1] neg_lo:[1,0,0] neg_hi:[1,0,0]
	s_wait_dscnt 0xc
	v_dual_mov_b32 v60, v20 :: v_dual_mov_b32 v61, v8
	v_pk_fma_f32 v[52:53], v[52:53], v[18:19], v[54:55] op_sel_hi:[1,0,1]
	s_wait_dscnt 0xa
	v_dual_mov_b32 v54, v22 :: v_dual_mov_b32 v55, v12
	v_pk_fma_f32 v[6:7], v[48:49], v[18:19], v[6:7] op_sel_hi:[1,0,1]
	ds_load_2addr_b32 v[48:49], v43 offset0:100 offset1:101
	ds_load_2addr_b32 v[62:63], v43 offset0:102 offset1:103
	;; [unrolled: 1-line block ×3, first 2 shown]
	ds_load_2addr_b32 v[66:67], v38 offset1:7
	ds_load_2addr_b32 v[68:69], v39 offset1:7
	ds_load_2addr_b32 v[70:71], v36 offset0:105 offset1:112
	v_dual_mov_b32 v8, v21 :: v_dual_mov_b32 v12, v23
	s_wait_dscnt 0x2
	v_pk_fma_f32 v[52:53], v[54:55], v[66:67], v[52:53] op_sel_hi:[1,0,1] neg_lo:[1,0,0] neg_hi:[1,0,0]
	v_pk_fma_f32 v[6:7], v[60:61], v[66:67], v[6:7] op_sel_hi:[1,0,1]
	s_wait_dscnt 0x1
	v_dual_mov_b32 v20, v67 :: v_dual_mov_b32 v22, v69
	s_wait_dscnt 0x0
	v_mov_b32_e32 v15, v70
	v_pk_fma_f32 v[52:53], v[60:61], v[68:69], v[52:53] op_sel_hi:[1,0,1]
	ds_load_2addr_b32 v[60:61], v37 offset0:105 offset1:112
	v_pk_fma_f32 v[6:7], v[54:55], v[68:69], v[6:7] op_sel_hi:[1,0,1] neg_lo:[1,0,0] neg_hi:[1,0,0]
	v_mov_b32_e32 v54, v11
	s_delay_alu instid0(VALU_DEP_2) | instskip(SKIP_2) | instid1(VALU_DEP_1)
	v_pk_fma_f32 v[6:7], v[14:15], v[16:17], v[6:7] op_sel:[0,1,0] neg_lo:[1,0,0] neg_hi:[1,0,0]
	s_wait_dscnt 0x0
	v_mov_b32_e32 v55, v60
	v_pk_fma_f32 v[52:53], v[54:55], v[16:17], v[52:53] op_sel:[0,1,0]
	ds_load_2addr_b32 v[16:17], v37 offset0:14 offset1:21
	v_pk_fma_f32 v[6:7], v[54:55], v[18:19], v[6:7] op_sel:[0,1,0]
	ds_load_2addr_b32 v[54:55], v37 offset0:119 offset1:126
	;; [unrolled: 2-line block ×3, first 2 shown]
	v_pk_fma_f32 v[6:7], v[8:9], v[20:21], v[6:7] op_sel_hi:[1,0,1]
	v_pk_fma_f32 v[14:15], v[12:13], v[20:21], v[14:15] op_sel_hi:[1,0,1] neg_lo:[1,0,0] neg_hi:[1,0,0]
	ds_load_2addr_b32 v[20:21], v42 offset0:100 offset1:101
	v_pk_fma_f32 v[6:7], v[12:13], v[22:23], v[6:7] op_sel_hi:[1,0,1] neg_lo:[1,0,0] neg_hi:[1,0,0]
	ds_load_2addr_b32 v[12:13], v39 offset0:14 offset1:21
	v_mov_b32_e32 v52, v24
	v_pk_fma_f32 v[8:9], v[8:9], v[22:23], v[14:15] op_sel_hi:[1,0,1]
	ds_load_2addr_b32 v[14:15], v38 offset0:14 offset1:21
	v_dual_mov_b32 v22, v46 :: v_dual_mov_b32 v23, v48
	v_mov_b32_e32 v48, v47
	ds_load_2addr_b32 v[46:47], v37 offset0:28 offset1:35
	s_wait_dscnt 0x6
	v_dual_mov_b32 v60, v16 :: v_dual_mov_b32 v16, v17
	s_wait_dscnt 0x5
	v_dual_mov_b32 v17, v54 :: v_dual_mov_b32 v24, v64
	s_wait_dscnt 0x4
	v_mov_b32_e32 v70, v18
	v_pk_fma_f32 v[8:9], v[60:61], v[50:51], v[8:9] op_sel_hi:[1,0,1]
	v_mov_b32_e32 v18, v19
	s_delay_alu instid0(VALU_DEP_3) | instskip(NEXT) | instid1(VALU_DEP_3)
	v_pk_fma_f32 v[6:7], v[70:71], v[50:51], v[6:7] op_sel_hi:[1,0,1] neg_lo:[1,0,0] neg_hi:[1,0,0]
	v_pk_fma_f32 v[8:9], v[70:71], v[56:57], v[8:9] op_sel_hi:[1,0,1]
	s_wait_dscnt 0x3
	v_dual_mov_b32 v53, v20 :: v_dual_mov_b32 v20, v25
	v_mov_b32_e32 v25, v62
	v_pk_fma_f32 v[6:7], v[60:61], v[56:57], v[6:7] op_sel_hi:[1,0,1]
	s_wait_dscnt 0x1
	v_pk_fma_f32 v[8:9], v[22:23], v[14:15], v[8:9] op_sel_hi:[1,0,1] neg_lo:[1,0,0] neg_hi:[1,0,0]
	s_wait_dscnt 0x0
	v_dual_mov_b32 v62, v65 :: v_dual_mov_b32 v54, v46
	v_pk_fma_f32 v[6:7], v[52:53], v[14:15], v[6:7] op_sel_hi:[1,0,1]
	s_delay_alu instid0(VALU_DEP_3)
	v_pk_fma_f32 v[8:9], v[52:53], v[12:13], v[8:9] op_sel_hi:[1,0,1]
	ds_load_2addr_b32 v[52:53], v36 offset0:119 offset1:126
	v_pk_fma_f32 v[6:7], v[22:23], v[12:13], v[6:7] op_sel_hi:[1,0,1] neg_lo:[1,0,0] neg_hi:[1,0,0]
	ds_load_2addr_b32 v[22:23], v36 offset0:28 offset1:35
	v_pk_fma_f32 v[8:9], v[16:17], v[50:51], v[8:9] op_sel:[0,1,0]
	v_mov_b32_e32 v12, v15
	ds_load_2addr_b32 v[14:15], v38 offset0:28 offset1:35
	s_wait_dscnt 0x1
	v_dual_mov_b32 v19, v52 :: v_dual_mov_b32 v52, v22
	s_delay_alu instid0(VALU_DEP_1)
	v_pk_fma_f32 v[6:7], v[18:19], v[50:51], v[6:7] op_sel:[0,1,0] neg_lo:[1,0,0] neg_hi:[1,0,0]
	v_pk_fma_f32 v[8:9], v[18:19], v[56:57], v[8:9] op_sel:[0,1,0]
	ds_load_2addr_b32 v[18:19], v36 offset0:133 offset1:140
	v_mov_b32_e32 v22, v23
	v_pk_fma_f32 v[6:7], v[16:17], v[56:57], v[6:7] op_sel:[0,1,0]
	v_mov_b32_e32 v16, v13
	v_pk_fma_f32 v[8:9], v[48:49], v[12:13], v[8:9] op_sel_hi:[1,0,1] neg_lo:[1,0,0] neg_hi:[1,0,0]
	s_delay_alu instid0(VALU_DEP_3) | instskip(NEXT) | instid1(VALU_DEP_2)
	v_pk_fma_f32 v[6:7], v[20:21], v[12:13], v[6:7] op_sel_hi:[1,0,1]
	v_pk_fma_f32 v[8:9], v[20:21], v[16:17], v[8:9] op_sel_hi:[1,0,1]
	ds_load_2addr_b32 v[12:13], v37 offset0:133 offset1:140
	ds_load_2addr_b32 v[20:21], v39 offset0:28 offset1:35
	v_mov_b32_e32 v46, v47
	v_pk_fma_f32 v[6:7], v[48:49], v[16:17], v[6:7] op_sel_hi:[1,0,1] neg_lo:[1,0,0] neg_hi:[1,0,0]
	v_dual_mov_b32 v16, v28 :: v_dual_mov_b32 v17, v26
	v_pk_fma_f32 v[8:9], v[54:55], v[30:31], v[8:9] op_sel_hi:[1,0,1]
	v_mov_b32_e32 v26, v29
	s_delay_alu instid0(VALU_DEP_4)
	v_pk_fma_f32 v[6:7], v[52:53], v[30:31], v[6:7] op_sel_hi:[1,0,1] neg_lo:[1,0,0] neg_hi:[1,0,0]
	s_wait_dscnt 0x2
	v_mov_b32_e32 v23, v18
	v_pk_fma_f32 v[8:9], v[52:53], v[58:59], v[8:9] op_sel_hi:[1,0,1]
	v_mov_b32_e32 v3, v19
	v_pk_fma_f32 v[6:7], v[54:55], v[58:59], v[6:7] op_sel_hi:[1,0,1]
	s_delay_alu instid0(VALU_DEP_3) | instskip(NEXT) | instid1(VALU_DEP_2)
	v_pk_fma_f32 v[8:9], v[24:25], v[14:15], v[8:9] op_sel_hi:[1,0,1] neg_lo:[1,0,0] neg_hi:[1,0,0]
	v_pk_fma_f32 v[6:7], v[16:17], v[14:15], v[6:7] op_sel_hi:[1,0,1]
	s_wait_dscnt 0x1
	v_mov_b32_e32 v47, v12
	s_wait_dscnt 0x0
	v_pk_fma_f32 v[8:9], v[16:17], v[20:21], v[8:9] op_sel_hi:[1,0,1]
	v_mov_b32_e32 v12, v15
	v_pk_fma_f32 v[6:7], v[24:25], v[20:21], v[6:7] op_sel_hi:[1,0,1] neg_lo:[1,0,0] neg_hi:[1,0,0]
	ds_load_2addr_b32 v[16:17], v42 offset0:6 offset1:104
	ds_load_2addr_b32 v[14:15], v43 offset0:6 offset1:104
	ds_load_b32 v18, v38 offset:168
	v_pk_fma_f32 v[8:9], v[46:47], v[30:31], v[8:9] op_sel:[0,1,0]
	v_mov_b32_e32 v20, v21
	v_pk_fma_f32 v[6:7], v[22:23], v[30:31], v[6:7] op_sel:[0,1,0] neg_lo:[1,0,0] neg_hi:[1,0,0]
	v_mov_b32_e32 v1, v13
	s_delay_alu instid0(VALU_DEP_4) | instskip(NEXT) | instid1(VALU_DEP_3)
	v_pk_fma_f32 v[8:9], v[22:23], v[58:59], v[8:9] op_sel:[0,1,0]
	v_pk_fma_f32 v[6:7], v[46:47], v[58:59], v[6:7] op_sel:[0,1,0]
	s_delay_alu instid0(VALU_DEP_2) | instskip(NEXT) | instid1(VALU_DEP_2)
	v_pk_fma_f32 v[8:9], v[62:63], v[12:13], v[8:9] op_sel_hi:[1,0,1] neg_lo:[1,0,0] neg_hi:[1,0,0]
	v_pk_fma_f32 v[6:7], v[26:27], v[12:13], v[6:7] op_sel_hi:[1,0,1]
	ds_load_b32 v12, v39 offset:168
	v_pk_fma_f32 v[8:9], v[26:27], v[20:21], v[8:9] op_sel_hi:[1,0,1]
	v_pk_fma_f32 v[6:7], v[62:63], v[20:21], v[6:7] op_sel_hi:[1,0,1] neg_lo:[1,0,0] neg_hi:[1,0,0]
	s_delay_alu instid0(VALU_DEP_2) | instskip(NEXT) | instid1(VALU_DEP_2)
	v_pk_fma_f32 v[8:9], v[0:1], v[10:11], v[8:9] op_sel_hi:[1,0,1]
	v_pk_fma_f32 v[6:7], v[2:3], v[10:11], v[6:7] op_sel_hi:[1,0,1] neg_lo:[1,0,0] neg_hi:[1,0,0]
	s_delay_alu instid0(VALU_DEP_2) | instskip(NEXT) | instid1(VALU_DEP_2)
	v_pk_fma_f32 v[2:3], v[2:3], v[4:5], v[8:9] op_sel_hi:[1,0,1]
	v_pk_fma_f32 v[0:1], v[0:1], v[4:5], v[6:7] op_sel_hi:[1,0,1]
	s_wait_dscnt 0x1
	s_delay_alu instid0(VALU_DEP_2) | instskip(NEXT) | instid1(VALU_DEP_2)
	v_pk_fma_f32 v[2:3], v[14:15], v[18:19], v[2:3] op_sel_hi:[1,0,1] neg_lo:[1,0,0] neg_hi:[1,0,0]
	v_pk_fma_f32 v[0:1], v[16:17], v[18:19], v[0:1] op_sel_hi:[1,0,1]
	s_wait_dscnt 0x0
	s_delay_alu instid0(VALU_DEP_2) | instskip(NEXT) | instid1(VALU_DEP_2)
	v_pk_fma_f32 v[4:5], v[16:17], v[12:13], v[2:3] op_sel_hi:[1,0,1]
	v_pk_fma_f32 v[0:1], v[14:15], v[12:13], v[0:1] op_sel_hi:[1,0,1] neg_lo:[1,0,0] neg_hi:[1,0,0]
	s_delay_alu instid0(VALU_DEP_2) | instskip(NEXT) | instid1(VALU_DEP_2)
	v_dual_mov_b32 v6, v4 :: v_dual_mov_b32 v2, v4
	v_dual_mov_b32 v3, v0 :: v_dual_mov_b32 v7, v0
	s_delay_alu instid0(VALU_DEP_4) | instskip(NEXT) | instid1(VALU_DEP_4)
	v_dual_mov_b32 v0, v5 :: v_dual_mov_b32 v8, v5
	v_mov_b32_e32 v9, v1
	s_wait_kmcnt 0x0
	s_clause 0x1
	global_store_b64 v44, v[6:7], s[6:7] scale_offset
	global_store_b64 v45, v[8:9], s[6:7] scale_offset
	s_branch .LBB24_4
.LBB24_9:
	s_sendmsg sendmsg(MSG_DEALLOC_VGPRS)
	s_endpgm
	.section	.rodata,"a",@progbits
	.p2align	6, 0x0
	.amdhsa_kernel _Z16final_gpu_kernelPK15HIP_vector_typeIfLj2EEPS0_S2_i
		.amdhsa_group_segment_fixed_size 1972
		.amdhsa_private_segment_fixed_size 0
		.amdhsa_kernarg_size 28
		.amdhsa_user_sgpr_count 2
		.amdhsa_user_sgpr_dispatch_ptr 0
		.amdhsa_user_sgpr_queue_ptr 0
		.amdhsa_user_sgpr_kernarg_segment_ptr 1
		.amdhsa_user_sgpr_dispatch_id 0
		.amdhsa_user_sgpr_kernarg_preload_length 0
		.amdhsa_user_sgpr_kernarg_preload_offset 0
		.amdhsa_user_sgpr_private_segment_size 0
		.amdhsa_wavefront_size32 1
		.amdhsa_uses_dynamic_stack 0
		.amdhsa_enable_private_segment 0
		.amdhsa_system_sgpr_workgroup_id_x 1
		.amdhsa_system_sgpr_workgroup_id_y 0
		.amdhsa_system_sgpr_workgroup_id_z 0
		.amdhsa_system_sgpr_workgroup_info 0
		.amdhsa_system_vgpr_workitem_id 1
		.amdhsa_next_free_vgpr 72
		.amdhsa_next_free_sgpr 9
		.amdhsa_named_barrier_count 0
		.amdhsa_reserve_vcc 1
		.amdhsa_float_round_mode_32 0
		.amdhsa_float_round_mode_16_64 0
		.amdhsa_float_denorm_mode_32 3
		.amdhsa_float_denorm_mode_16_64 3
		.amdhsa_fp16_overflow 0
		.amdhsa_memory_ordered 1
		.amdhsa_forward_progress 1
		.amdhsa_inst_pref_size 15
		.amdhsa_round_robin_scheduling 0
		.amdhsa_exception_fp_ieee_invalid_op 0
		.amdhsa_exception_fp_denorm_src 0
		.amdhsa_exception_fp_ieee_div_zero 0
		.amdhsa_exception_fp_ieee_overflow 0
		.amdhsa_exception_fp_ieee_underflow 0
		.amdhsa_exception_fp_ieee_inexact 0
		.amdhsa_exception_int_div_zero 0
	.end_amdhsa_kernel
	.text
.Lfunc_end24:
	.size	_Z16final_gpu_kernelPK15HIP_vector_typeIfLj2EEPS0_S2_i, .Lfunc_end24-_Z16final_gpu_kernelPK15HIP_vector_typeIfLj2EEPS0_S2_i
                                        ; -- End function
	.set _Z16final_gpu_kernelPK15HIP_vector_typeIfLj2EEPS0_S2_i.num_vgpr, 72
	.set _Z16final_gpu_kernelPK15HIP_vector_typeIfLj2EEPS0_S2_i.num_agpr, 0
	.set _Z16final_gpu_kernelPK15HIP_vector_typeIfLj2EEPS0_S2_i.numbered_sgpr, 9
	.set _Z16final_gpu_kernelPK15HIP_vector_typeIfLj2EEPS0_S2_i.num_named_barrier, 0
	.set _Z16final_gpu_kernelPK15HIP_vector_typeIfLj2EEPS0_S2_i.private_seg_size, 0
	.set _Z16final_gpu_kernelPK15HIP_vector_typeIfLj2EEPS0_S2_i.uses_vcc, 1
	.set _Z16final_gpu_kernelPK15HIP_vector_typeIfLj2EEPS0_S2_i.uses_flat_scratch, 0
	.set _Z16final_gpu_kernelPK15HIP_vector_typeIfLj2EEPS0_S2_i.has_dyn_sized_stack, 0
	.set _Z16final_gpu_kernelPK15HIP_vector_typeIfLj2EEPS0_S2_i.has_recursion, 0
	.set _Z16final_gpu_kernelPK15HIP_vector_typeIfLj2EEPS0_S2_i.has_indirect_call, 0
	.section	.AMDGPU.csdata,"",@progbits
; Kernel info:
; codeLenInByte = 1856
; TotalNumSgprs: 11
; NumVgprs: 72
; ScratchSize: 0
; MemoryBound: 0
; FloatMode: 240
; IeeeMode: 1
; LDSByteSize: 1972 bytes/workgroup (compile time only)
; SGPRBlocks: 0
; VGPRBlocks: 4
; NumSGPRsForWavesPerEU: 11
; NumVGPRsForWavesPerEU: 72
; NamedBarCnt: 0
; Occupancy: 12
; WaveLimiterHint : 0
; COMPUTE_PGM_RSRC2:SCRATCH_EN: 0
; COMPUTE_PGM_RSRC2:USER_SGPR: 2
; COMPUTE_PGM_RSRC2:TRAP_HANDLER: 0
; COMPUTE_PGM_RSRC2:TGID_X_EN: 1
; COMPUTE_PGM_RSRC2:TGID_Y_EN: 0
; COMPUTE_PGM_RSRC2:TGID_Z_EN: 0
; COMPUTE_PGM_RSRC2:TIDIG_COMP_CNT: 1
	.text
	.p2alignl 7, 3214868480
	.fill 96, 4, 3214868480
	.section	.AMDGPU.gpr_maximums,"",@progbits
	.set amdgpu.max_num_vgpr, 0
	.set amdgpu.max_num_agpr, 0
	.set amdgpu.max_num_sgpr, 0
	.text
	.type	__hip_cuid_872690656b6d4165,@object ; @__hip_cuid_872690656b6d4165
	.section	.bss,"aw",@nobits
	.globl	__hip_cuid_872690656b6d4165
__hip_cuid_872690656b6d4165:
	.byte	0                               ; 0x0
	.size	__hip_cuid_872690656b6d4165, 1

	.ident	"AMD clang version 22.0.0git (https://github.com/RadeonOpenCompute/llvm-project roc-7.2.4 26084 f58b06dce1f9c15707c5f808fd002e18c2accf7e)"
	.section	".note.GNU-stack","",@progbits
	.addrsig
	.addrsig_sym __hip_cuid_872690656b6d4165
	.amdgpu_metadata
---
amdhsa.kernels:
  - .args:
      - .actual_access:  read_only
        .address_space:  global
        .offset:         0
        .size:           8
        .value_kind:     global_buffer
      - .actual_access:  read_only
        .address_space:  global
        .offset:         8
        .size:           8
        .value_kind:     global_buffer
      - .actual_access:  read_only
        .address_space:  global
        .offset:         16
        .size:           8
        .value_kind:     global_buffer
    .group_segment_fixed_size: 0
    .kernarg_segment_align: 8
    .kernarg_segment_size: 24
    .language:       OpenCL C
    .language_version:
      - 2
      - 0
    .max_flat_workgroup_size: 1024
    .name:           _Z10comm_emptyP15HIP_vector_typeIfLj2EES1_S1_
    .private_segment_fixed_size: 0
    .sgpr_count:     0
    .sgpr_spill_count: 0
    .symbol:         _Z10comm_emptyP15HIP_vector_typeIfLj2EES1_S1_.kd
    .uniform_work_group_size: 1
    .uses_dynamic_stack: false
    .vgpr_count:     0
    .vgpr_spill_count: 0
    .wavefront_size: 32
  - .args:
      - .actual_access:  read_only
        .address_space:  global
        .offset:         0
        .size:           8
        .value_kind:     global_buffer
      - .address_space:  global
        .offset:         8
        .size:           8
        .value_kind:     global_buffer
      - .actual_access:  read_only
        .address_space:  global
        .offset:         16
        .size:           8
        .value_kind:     global_buffer
      - .offset:         24
        .size:           4
        .value_kind:     by_value
      - .offset:         32
        .size:           4
        .value_kind:     hidden_block_count_x
      - .offset:         36
        .size:           4
        .value_kind:     hidden_block_count_y
      - .offset:         40
        .size:           4
        .value_kind:     hidden_block_count_z
      - .offset:         44
        .size:           2
        .value_kind:     hidden_group_size_x
      - .offset:         46
        .size:           2
        .value_kind:     hidden_group_size_y
      - .offset:         48
        .size:           2
        .value_kind:     hidden_group_size_z
      - .offset:         50
        .size:           2
        .value_kind:     hidden_remainder_x
      - .offset:         52
        .size:           2
        .value_kind:     hidden_remainder_y
      - .offset:         54
        .size:           2
        .value_kind:     hidden_remainder_z
      - .offset:         72
        .size:           8
        .value_kind:     hidden_global_offset_x
      - .offset:         80
        .size:           8
        .value_kind:     hidden_global_offset_y
      - .offset:         88
        .size:           8
        .value_kind:     hidden_global_offset_z
      - .offset:         96
        .size:           2
        .value_kind:     hidden_grid_dims
    .group_segment_fixed_size: 0
    .kernarg_segment_align: 8
    .kernarg_segment_size: 288
    .language:       OpenCL C
    .language_version:
      - 2
      - 0
    .max_flat_workgroup_size: 1024
    .name:           _Z9comm_initPK15HIP_vector_typeIfLj2EEPS0_S2_i
    .private_segment_fixed_size: 0
    .sgpr_count:     26
    .sgpr_spill_count: 0
    .symbol:         _Z9comm_initPK15HIP_vector_typeIfLj2EEPS0_S2_i.kd
    .uniform_work_group_size: 1
    .uses_dynamic_stack: false
    .vgpr_count:     20
    .vgpr_spill_count: 0
    .wavefront_size: 32
  - .args:
      - .actual_access:  read_only
        .address_space:  global
        .offset:         0
        .size:           8
        .value_kind:     global_buffer
      - .address_space:  global
        .offset:         8
        .size:           8
        .value_kind:     global_buffer
      - .actual_access:  read_only
        .address_space:  global
        .offset:         16
        .size:           8
        .value_kind:     global_buffer
      - .offset:         24
        .size:           4
        .value_kind:     by_value
      - .offset:         32
        .size:           4
        .value_kind:     hidden_block_count_x
      - .offset:         36
        .size:           4
        .value_kind:     hidden_block_count_y
      - .offset:         40
        .size:           4
        .value_kind:     hidden_block_count_z
      - .offset:         44
        .size:           2
        .value_kind:     hidden_group_size_x
      - .offset:         46
        .size:           2
        .value_kind:     hidden_group_size_y
      - .offset:         48
        .size:           2
        .value_kind:     hidden_group_size_z
      - .offset:         50
        .size:           2
        .value_kind:     hidden_remainder_x
      - .offset:         52
        .size:           2
        .value_kind:     hidden_remainder_y
      - .offset:         54
        .size:           2
        .value_kind:     hidden_remainder_z
      - .offset:         72
        .size:           8
        .value_kind:     hidden_global_offset_x
      - .offset:         80
        .size:           8
        .value_kind:     hidden_global_offset_y
      - .offset:         88
        .size:           8
        .value_kind:     hidden_global_offset_z
      - .offset:         96
        .size:           2
        .value_kind:     hidden_grid_dims
    .group_segment_fixed_size: 0
    .kernarg_segment_align: 8
    .kernarg_segment_size: 288
    .language:       OpenCL C
    .language_version:
      - 2
      - 0
    .max_flat_workgroup_size: 1024
    .name:           _Z13comm_refactorPK15HIP_vector_typeIfLj2EEPS0_S2_i
    .private_segment_fixed_size: 0
    .sgpr_count:     42
    .sgpr_spill_count: 0
    .symbol:         _Z13comm_refactorPK15HIP_vector_typeIfLj2EEPS0_S2_i.kd
    .uniform_work_group_size: 1
    .uses_dynamic_stack: false
    .vgpr_count:     28
    .vgpr_spill_count: 0
    .wavefront_size: 32
  - .args:
      - .actual_access:  read_only
        .address_space:  global
        .offset:         0
        .size:           8
        .value_kind:     global_buffer
      - .address_space:  global
        .offset:         8
        .size:           8
        .value_kind:     global_buffer
      - .actual_access:  read_only
        .address_space:  global
        .offset:         16
        .size:           8
        .value_kind:     global_buffer
      - .offset:         24
        .size:           4
        .value_kind:     by_value
      - .offset:         32
        .size:           4
        .value_kind:     hidden_block_count_x
      - .offset:         36
        .size:           4
        .value_kind:     hidden_block_count_y
      - .offset:         40
        .size:           4
        .value_kind:     hidden_block_count_z
      - .offset:         44
        .size:           2
        .value_kind:     hidden_group_size_x
      - .offset:         46
        .size:           2
        .value_kind:     hidden_group_size_y
      - .offset:         48
        .size:           2
        .value_kind:     hidden_group_size_z
      - .offset:         50
        .size:           2
        .value_kind:     hidden_remainder_x
      - .offset:         52
        .size:           2
        .value_kind:     hidden_remainder_y
      - .offset:         54
        .size:           2
        .value_kind:     hidden_remainder_z
      - .offset:         72
        .size:           8
        .value_kind:     hidden_global_offset_x
      - .offset:         80
        .size:           8
        .value_kind:     hidden_global_offset_y
      - .offset:         88
        .size:           8
        .value_kind:     hidden_global_offset_z
      - .offset:         96
        .size:           2
        .value_kind:     hidden_grid_dims
    .group_segment_fixed_size: 0
    .kernarg_segment_align: 8
    .kernarg_segment_size: 288
    .language:       OpenCL C
    .language_version:
      - 2
      - 0
    .max_flat_workgroup_size: 1024
    .name:           _Z26comm_refactor_direct_storePK15HIP_vector_typeIfLj2EEPS0_S2_i
    .private_segment_fixed_size: 0
    .sgpr_count:     40
    .sgpr_spill_count: 0
    .symbol:         _Z26comm_refactor_direct_storePK15HIP_vector_typeIfLj2EEPS0_S2_i.kd
    .uniform_work_group_size: 1
    .uses_dynamic_stack: false
    .vgpr_count:     28
    .vgpr_spill_count: 0
    .wavefront_size: 32
  - .args:
      - .actual_access:  read_only
        .address_space:  global
        .offset:         0
        .size:           8
        .value_kind:     global_buffer
      - .address_space:  global
        .offset:         8
        .size:           8
        .value_kind:     global_buffer
      - .actual_access:  read_only
        .address_space:  global
        .offset:         16
        .size:           8
        .value_kind:     global_buffer
      - .offset:         24
        .size:           4
        .value_kind:     by_value
      - .offset:         32
        .size:           4
        .value_kind:     hidden_block_count_x
      - .offset:         36
        .size:           4
        .value_kind:     hidden_block_count_y
      - .offset:         40
        .size:           4
        .value_kind:     hidden_block_count_z
      - .offset:         44
        .size:           2
        .value_kind:     hidden_group_size_x
      - .offset:         46
        .size:           2
        .value_kind:     hidden_group_size_y
      - .offset:         48
        .size:           2
        .value_kind:     hidden_group_size_z
      - .offset:         50
        .size:           2
        .value_kind:     hidden_remainder_x
      - .offset:         52
        .size:           2
        .value_kind:     hidden_remainder_y
      - .offset:         54
        .size:           2
        .value_kind:     hidden_remainder_z
      - .offset:         72
        .size:           8
        .value_kind:     hidden_global_offset_x
      - .offset:         80
        .size:           8
        .value_kind:     hidden_global_offset_y
      - .offset:         88
        .size:           8
        .value_kind:     hidden_global_offset_z
      - .offset:         96
        .size:           2
        .value_kind:     hidden_grid_dims
    .group_segment_fixed_size: 0
    .kernarg_segment_align: 8
    .kernarg_segment_size: 288
    .language:       OpenCL C
    .language_version:
      - 2
      - 0
    .max_flat_workgroup_size: 1024
    .name:           _Z16comm_aosoa_naivePK15HIP_vector_typeIfLj2EEPS0_S2_i
    .private_segment_fixed_size: 0
    .sgpr_count:     36
    .sgpr_spill_count: 0
    .symbol:         _Z16comm_aosoa_naivePK15HIP_vector_typeIfLj2EEPS0_S2_i.kd
    .uniform_work_group_size: 1
    .uses_dynamic_stack: false
    .vgpr_count:     24
    .vgpr_spill_count: 0
    .wavefront_size: 32
  - .args:
      - .actual_access:  read_only
        .address_space:  global
        .offset:         0
        .size:           8
        .value_kind:     global_buffer
      - .address_space:  global
        .offset:         8
        .size:           8
        .value_kind:     global_buffer
      - .actual_access:  read_only
        .address_space:  global
        .offset:         16
        .size:           8
        .value_kind:     global_buffer
      - .offset:         24
        .size:           4
        .value_kind:     by_value
      - .offset:         32
        .size:           4
        .value_kind:     hidden_block_count_x
      - .offset:         36
        .size:           4
        .value_kind:     hidden_block_count_y
      - .offset:         40
        .size:           4
        .value_kind:     hidden_block_count_z
      - .offset:         44
        .size:           2
        .value_kind:     hidden_group_size_x
      - .offset:         46
        .size:           2
        .value_kind:     hidden_group_size_y
      - .offset:         48
        .size:           2
        .value_kind:     hidden_group_size_z
      - .offset:         50
        .size:           2
        .value_kind:     hidden_remainder_x
      - .offset:         52
        .size:           2
        .value_kind:     hidden_remainder_y
      - .offset:         54
        .size:           2
        .value_kind:     hidden_remainder_z
      - .offset:         72
        .size:           8
        .value_kind:     hidden_global_offset_x
      - .offset:         80
        .size:           8
        .value_kind:     hidden_global_offset_y
      - .offset:         88
        .size:           8
        .value_kind:     hidden_global_offset_z
      - .offset:         96
        .size:           2
        .value_kind:     hidden_grid_dims
    .group_segment_fixed_size: 0
    .kernarg_segment_align: 8
    .kernarg_segment_size: 288
    .language:       OpenCL C
    .language_version:
      - 2
      - 0
    .max_flat_workgroup_size: 1024
    .name:           _Z26comm_aosoa_naive_constantsPK15HIP_vector_typeIfLj2EEPS0_S2_i
    .private_segment_fixed_size: 0
    .sgpr_count:     62
    .sgpr_spill_count: 0
    .symbol:         _Z26comm_aosoa_naive_constantsPK15HIP_vector_typeIfLj2EEPS0_S2_i.kd
    .uniform_work_group_size: 1
    .uses_dynamic_stack: false
    .vgpr_count:     39
    .vgpr_spill_count: 0
    .wavefront_size: 32
  - .args:
      - .actual_access:  read_only
        .address_space:  global
        .offset:         0
        .size:           8
        .value_kind:     global_buffer
      - .address_space:  global
        .offset:         8
        .size:           8
        .value_kind:     global_buffer
      - .actual_access:  read_only
        .address_space:  global
        .offset:         16
        .size:           8
        .value_kind:     global_buffer
      - .offset:         24
        .size:           4
        .value_kind:     hidden_block_count_x
      - .offset:         28
        .size:           4
        .value_kind:     hidden_block_count_y
      - .offset:         32
        .size:           4
        .value_kind:     hidden_block_count_z
      - .offset:         36
        .size:           2
        .value_kind:     hidden_group_size_x
      - .offset:         38
        .size:           2
        .value_kind:     hidden_group_size_y
      - .offset:         40
        .size:           2
        .value_kind:     hidden_group_size_z
      - .offset:         42
        .size:           2
        .value_kind:     hidden_remainder_x
      - .offset:         44
        .size:           2
        .value_kind:     hidden_remainder_y
      - .offset:         46
        .size:           2
        .value_kind:     hidden_remainder_z
      - .offset:         64
        .size:           8
        .value_kind:     hidden_global_offset_x
      - .offset:         72
        .size:           8
        .value_kind:     hidden_global_offset_y
      - .offset:         80
        .size:           8
        .value_kind:     hidden_global_offset_z
      - .offset:         88
        .size:           2
        .value_kind:     hidden_grid_dims
    .group_segment_fixed_size: 0
    .kernarg_segment_align: 8
    .kernarg_segment_size: 280
    .language:       OpenCL C
    .language_version:
      - 2
      - 0
    .max_flat_workgroup_size: 1024
    .name:           _Z31comm_aosoa_naive_constants_permPK15HIP_vector_typeIfLj2EEPS0_S2_
    .private_segment_fixed_size: 0
    .sgpr_count:     40
    .sgpr_spill_count: 0
    .symbol:         _Z31comm_aosoa_naive_constants_permPK15HIP_vector_typeIfLj2EEPS0_S2_.kd
    .uniform_work_group_size: 1
    .uses_dynamic_stack: false
    .vgpr_count:     57
    .vgpr_spill_count: 0
    .wavefront_size: 32
  - .args:
      - .actual_access:  read_only
        .address_space:  global
        .offset:         0
        .size:           8
        .value_kind:     global_buffer
      - .address_space:  global
        .offset:         8
        .size:           8
        .value_kind:     global_buffer
      - .actual_access:  read_only
        .address_space:  global
        .offset:         16
        .size:           8
        .value_kind:     global_buffer
      - .offset:         24
        .size:           4
        .value_kind:     by_value
      - .offset:         32
        .size:           4
        .value_kind:     hidden_block_count_x
      - .offset:         36
        .size:           4
        .value_kind:     hidden_block_count_y
      - .offset:         40
        .size:           4
        .value_kind:     hidden_block_count_z
      - .offset:         44
        .size:           2
        .value_kind:     hidden_group_size_x
      - .offset:         46
        .size:           2
        .value_kind:     hidden_group_size_y
      - .offset:         48
        .size:           2
        .value_kind:     hidden_group_size_z
      - .offset:         50
        .size:           2
        .value_kind:     hidden_remainder_x
      - .offset:         52
        .size:           2
        .value_kind:     hidden_remainder_y
      - .offset:         54
        .size:           2
        .value_kind:     hidden_remainder_z
      - .offset:         72
        .size:           8
        .value_kind:     hidden_global_offset_x
      - .offset:         80
        .size:           8
        .value_kind:     hidden_global_offset_y
      - .offset:         88
        .size:           8
        .value_kind:     hidden_global_offset_z
      - .offset:         96
        .size:           2
        .value_kind:     hidden_grid_dims
    .group_segment_fixed_size: 0
    .kernarg_segment_align: 8
    .kernarg_segment_size: 288
    .language:       OpenCL C
    .language_version:
      - 2
      - 0
    .max_flat_workgroup_size: 1024
    .name:           _Z23comm_aosoa_naive_directPK15HIP_vector_typeIfLj2EEPS0_S2_i
    .private_segment_fixed_size: 0
    .sgpr_count:     36
    .sgpr_spill_count: 0
    .symbol:         _Z23comm_aosoa_naive_directPK15HIP_vector_typeIfLj2EEPS0_S2_i.kd
    .uniform_work_group_size: 1
    .uses_dynamic_stack: false
    .vgpr_count:     28
    .vgpr_spill_count: 0
    .wavefront_size: 32
  - .args:
      - .actual_access:  read_only
        .address_space:  global
        .offset:         0
        .size:           8
        .value_kind:     global_buffer
      - .address_space:  global
        .offset:         8
        .size:           8
        .value_kind:     global_buffer
      - .actual_access:  read_only
        .address_space:  global
        .offset:         16
        .size:           8
        .value_kind:     global_buffer
      - .offset:         24
        .size:           4
        .value_kind:     hidden_block_count_x
      - .offset:         28
        .size:           4
        .value_kind:     hidden_block_count_y
      - .offset:         32
        .size:           4
        .value_kind:     hidden_block_count_z
      - .offset:         36
        .size:           2
        .value_kind:     hidden_group_size_x
      - .offset:         38
        .size:           2
        .value_kind:     hidden_group_size_y
      - .offset:         40
        .size:           2
        .value_kind:     hidden_group_size_z
      - .offset:         42
        .size:           2
        .value_kind:     hidden_remainder_x
      - .offset:         44
        .size:           2
        .value_kind:     hidden_remainder_y
      - .offset:         46
        .size:           2
        .value_kind:     hidden_remainder_z
      - .offset:         64
        .size:           8
        .value_kind:     hidden_global_offset_x
      - .offset:         72
        .size:           8
        .value_kind:     hidden_global_offset_y
      - .offset:         80
        .size:           8
        .value_kind:     hidden_global_offset_z
      - .offset:         88
        .size:           2
        .value_kind:     hidden_grid_dims
    .group_segment_fixed_size: 0
    .kernarg_segment_align: 8
    .kernarg_segment_size: 280
    .language:       OpenCL C
    .language_version:
      - 2
      - 0
    .max_flat_workgroup_size: 1024
    .name:           _Z33comm_aosoa_naive_constants_directPK15HIP_vector_typeIfLj2EEPS0_S2_
    .private_segment_fixed_size: 0
    .sgpr_count:     62
    .sgpr_spill_count: 0
    .symbol:         _Z33comm_aosoa_naive_constants_directPK15HIP_vector_typeIfLj2EEPS0_S2_.kd
    .uniform_work_group_size: 1
    .uses_dynamic_stack: false
    .vgpr_count:     37
    .vgpr_spill_count: 0
    .wavefront_size: 32
  - .args:
      - .actual_access:  read_only
        .address_space:  global
        .offset:         0
        .size:           8
        .value_kind:     global_buffer
      - .address_space:  global
        .offset:         8
        .size:           8
        .value_kind:     global_buffer
      - .actual_access:  read_only
        .address_space:  global
        .offset:         16
        .size:           8
        .value_kind:     global_buffer
      - .offset:         24
        .size:           4
        .value_kind:     hidden_block_count_x
      - .offset:         28
        .size:           4
        .value_kind:     hidden_block_count_y
      - .offset:         32
        .size:           4
        .value_kind:     hidden_block_count_z
      - .offset:         36
        .size:           2
        .value_kind:     hidden_group_size_x
      - .offset:         38
        .size:           2
        .value_kind:     hidden_group_size_y
      - .offset:         40
        .size:           2
        .value_kind:     hidden_group_size_z
      - .offset:         42
        .size:           2
        .value_kind:     hidden_remainder_x
      - .offset:         44
        .size:           2
        .value_kind:     hidden_remainder_y
      - .offset:         46
        .size:           2
        .value_kind:     hidden_remainder_z
      - .offset:         64
        .size:           8
        .value_kind:     hidden_global_offset_x
      - .offset:         72
        .size:           8
        .value_kind:     hidden_global_offset_y
      - .offset:         80
        .size:           8
        .value_kind:     hidden_global_offset_z
      - .offset:         88
        .size:           2
        .value_kind:     hidden_grid_dims
    .group_segment_fixed_size: 0
    .kernarg_segment_align: 8
    .kernarg_segment_size: 280
    .language:       OpenCL C
    .language_version:
      - 2
      - 0
    .max_flat_workgroup_size: 1024
    .name:           _Z38comm_aosoa_naive_constants_direct_permPK15HIP_vector_typeIfLj2EEPS0_S2_
    .private_segment_fixed_size: 0
    .sgpr_count:     40
    .sgpr_spill_count: 0
    .symbol:         _Z38comm_aosoa_naive_constants_direct_permPK15HIP_vector_typeIfLj2EEPS0_S2_.kd
    .uniform_work_group_size: 1
    .uses_dynamic_stack: false
    .vgpr_count:     57
    .vgpr_spill_count: 0
    .wavefront_size: 32
  - .args:
      - .actual_access:  read_only
        .address_space:  global
        .offset:         0
        .size:           8
        .value_kind:     global_buffer
      - .address_space:  global
        .offset:         8
        .size:           8
        .value_kind:     global_buffer
      - .actual_access:  read_only
        .address_space:  global
        .offset:         16
        .size:           8
        .value_kind:     global_buffer
      - .offset:         24
        .size:           4
        .value_kind:     by_value
    .group_segment_fixed_size: 0
    .kernarg_segment_align: 8
    .kernarg_segment_size: 28
    .language:       OpenCL C
    .language_version:
      - 2
      - 0
    .max_flat_workgroup_size: 1024
    .name:           _Z10comm_aosoaPK15HIP_vector_typeIfLj2EEPS0_S2_i
    .private_segment_fixed_size: 0
    .sgpr_count:     36
    .sgpr_spill_count: 0
    .symbol:         _Z10comm_aosoaPK15HIP_vector_typeIfLj2EEPS0_S2_i.kd
    .uniform_work_group_size: 1
    .uses_dynamic_stack: false
    .vgpr_count:     22
    .vgpr_spill_count: 0
    .wavefront_size: 32
  - .args:
      - .actual_access:  read_only
        .address_space:  global
        .offset:         0
        .size:           8
        .value_kind:     global_buffer
      - .address_space:  global
        .offset:         8
        .size:           8
        .value_kind:     global_buffer
      - .actual_access:  read_only
        .address_space:  global
        .offset:         16
        .size:           8
        .value_kind:     global_buffer
    .group_segment_fixed_size: 0
    .kernarg_segment_align: 8
    .kernarg_segment_size: 24
    .language:       OpenCL C
    .language_version:
      - 2
      - 0
    .max_flat_workgroup_size: 1024
    .name:           _Z20comm_aosoa_constantsPK15HIP_vector_typeIfLj2EEPS0_S2_
    .private_segment_fixed_size: 0
    .sgpr_count:     62
    .sgpr_spill_count: 0
    .symbol:         _Z20comm_aosoa_constantsPK15HIP_vector_typeIfLj2EEPS0_S2_.kd
    .uniform_work_group_size: 1
    .uses_dynamic_stack: false
    .vgpr_count:     39
    .vgpr_spill_count: 0
    .wavefront_size: 32
  - .args:
      - .actual_access:  read_only
        .address_space:  global
        .offset:         0
        .size:           8
        .value_kind:     global_buffer
      - .address_space:  global
        .offset:         8
        .size:           8
        .value_kind:     global_buffer
      - .actual_access:  read_only
        .address_space:  global
        .offset:         16
        .size:           8
        .value_kind:     global_buffer
    .group_segment_fixed_size: 0
    .kernarg_segment_align: 8
    .kernarg_segment_size: 24
    .language:       OpenCL C
    .language_version:
      - 2
      - 0
    .max_flat_workgroup_size: 1024
    .name:           _Z25comm_aosoa_constants_permPK15HIP_vector_typeIfLj2EEPS0_S2_
    .private_segment_fixed_size: 0
    .sgpr_count:     40
    .sgpr_spill_count: 0
    .symbol:         _Z25comm_aosoa_constants_permPK15HIP_vector_typeIfLj2EEPS0_S2_.kd
    .uniform_work_group_size: 1
    .uses_dynamic_stack: false
    .vgpr_count:     58
    .vgpr_spill_count: 0
    .wavefront_size: 32
  - .args:
      - .actual_access:  read_only
        .address_space:  global
        .offset:         0
        .size:           8
        .value_kind:     global_buffer
      - .address_space:  global
        .offset:         8
        .size:           8
        .value_kind:     global_buffer
      - .actual_access:  read_only
        .address_space:  global
        .offset:         16
        .size:           8
        .value_kind:     global_buffer
      - .offset:         24
        .size:           4
        .value_kind:     by_value
    .group_segment_fixed_size: 0
    .kernarg_segment_align: 8
    .kernarg_segment_size: 28
    .language:       OpenCL C
    .language_version:
      - 2
      - 0
    .max_flat_workgroup_size: 1024
    .name:           _Z17comm_aosoa_directPK15HIP_vector_typeIfLj2EEPS0_S2_i
    .private_segment_fixed_size: 0
    .sgpr_count:     36
    .sgpr_spill_count: 0
    .symbol:         _Z17comm_aosoa_directPK15HIP_vector_typeIfLj2EEPS0_S2_i.kd
    .uniform_work_group_size: 1
    .uses_dynamic_stack: false
    .vgpr_count:     26
    .vgpr_spill_count: 0
    .wavefront_size: 32
  - .args:
      - .actual_access:  read_only
        .address_space:  global
        .offset:         0
        .size:           8
        .value_kind:     global_buffer
      - .address_space:  global
        .offset:         8
        .size:           8
        .value_kind:     global_buffer
      - .actual_access:  read_only
        .address_space:  global
        .offset:         16
        .size:           8
        .value_kind:     global_buffer
    .group_segment_fixed_size: 0
    .kernarg_segment_align: 8
    .kernarg_segment_size: 24
    .language:       OpenCL C
    .language_version:
      - 2
      - 0
    .max_flat_workgroup_size: 1024
    .name:           _Z27comm_aosoa_constants_directPK15HIP_vector_typeIfLj2EEPS0_S2_
    .private_segment_fixed_size: 0
    .sgpr_count:     62
    .sgpr_spill_count: 0
    .symbol:         _Z27comm_aosoa_constants_directPK15HIP_vector_typeIfLj2EEPS0_S2_.kd
    .uniform_work_group_size: 1
    .uses_dynamic_stack: false
    .vgpr_count:     37
    .vgpr_spill_count: 0
    .wavefront_size: 32
  - .args:
      - .actual_access:  read_only
        .address_space:  global
        .offset:         0
        .size:           8
        .value_kind:     global_buffer
      - .address_space:  global
        .offset:         8
        .size:           8
        .value_kind:     global_buffer
      - .actual_access:  read_only
        .address_space:  global
        .offset:         16
        .size:           8
        .value_kind:     global_buffer
    .group_segment_fixed_size: 0
    .kernarg_segment_align: 8
    .kernarg_segment_size: 24
    .language:       OpenCL C
    .language_version:
      - 2
      - 0
    .max_flat_workgroup_size: 1024
    .name:           _Z32comm_aosoa_constants_direct_permPK15HIP_vector_typeIfLj2EEPS0_S2_
    .private_segment_fixed_size: 0
    .sgpr_count:     40
    .sgpr_spill_count: 0
    .symbol:         _Z32comm_aosoa_constants_direct_permPK15HIP_vector_typeIfLj2EEPS0_S2_.kd
    .uniform_work_group_size: 1
    .uses_dynamic_stack: false
    .vgpr_count:     58
    .vgpr_spill_count: 0
    .wavefront_size: 32
  - .args:
      - .actual_access:  read_only
        .address_space:  global
        .offset:         0
        .size:           8
        .value_kind:     global_buffer
      - .address_space:  global
        .offset:         8
        .size:           8
        .value_kind:     global_buffer
      - .actual_access:  read_only
        .address_space:  global
        .offset:         16
        .size:           8
        .value_kind:     global_buffer
      - .offset:         24
        .size:           4
        .value_kind:     by_value
      - .offset:         32
        .size:           4
        .value_kind:     hidden_block_count_x
      - .offset:         36
        .size:           4
        .value_kind:     hidden_block_count_y
      - .offset:         40
        .size:           4
        .value_kind:     hidden_block_count_z
      - .offset:         44
        .size:           2
        .value_kind:     hidden_group_size_x
      - .offset:         46
        .size:           2
        .value_kind:     hidden_group_size_y
      - .offset:         48
        .size:           2
        .value_kind:     hidden_group_size_z
      - .offset:         50
        .size:           2
        .value_kind:     hidden_remainder_x
      - .offset:         52
        .size:           2
        .value_kind:     hidden_remainder_y
      - .offset:         54
        .size:           2
        .value_kind:     hidden_remainder_z
      - .offset:         72
        .size:           8
        .value_kind:     hidden_global_offset_x
      - .offset:         80
        .size:           8
        .value_kind:     hidden_global_offset_y
      - .offset:         88
        .size:           8
        .value_kind:     hidden_global_offset_z
      - .offset:         96
        .size:           2
        .value_kind:     hidden_grid_dims
    .group_segment_fixed_size: 0
    .kernarg_segment_align: 8
    .kernarg_segment_size: 288
    .language:       OpenCL C
    .language_version:
      - 2
      - 0
    .max_flat_workgroup_size: 1024
    .name:           _Z17comm_manual_aosoaPK15HIP_vector_typeIfLj2EEPS0_S2_i
    .private_segment_fixed_size: 0
    .sgpr_count:     36
    .sgpr_spill_count: 0
    .symbol:         _Z17comm_manual_aosoaPK15HIP_vector_typeIfLj2EEPS0_S2_i.kd
    .uniform_work_group_size: 1
    .uses_dynamic_stack: false
    .vgpr_count:     36
    .vgpr_spill_count: 0
    .wavefront_size: 32
  - .args:
      - .actual_access:  read_only
        .address_space:  global
        .offset:         0
        .size:           8
        .value_kind:     global_buffer
      - .address_space:  global
        .offset:         8
        .size:           8
        .value_kind:     global_buffer
      - .actual_access:  read_only
        .address_space:  global
        .offset:         16
        .size:           8
        .value_kind:     global_buffer
      - .offset:         24
        .size:           4
        .value_kind:     hidden_block_count_x
      - .offset:         28
        .size:           4
        .value_kind:     hidden_block_count_y
      - .offset:         32
        .size:           4
        .value_kind:     hidden_block_count_z
      - .offset:         36
        .size:           2
        .value_kind:     hidden_group_size_x
      - .offset:         38
        .size:           2
        .value_kind:     hidden_group_size_y
      - .offset:         40
        .size:           2
        .value_kind:     hidden_group_size_z
      - .offset:         42
        .size:           2
        .value_kind:     hidden_remainder_x
      - .offset:         44
        .size:           2
        .value_kind:     hidden_remainder_y
      - .offset:         46
        .size:           2
        .value_kind:     hidden_remainder_z
      - .offset:         64
        .size:           8
        .value_kind:     hidden_global_offset_x
      - .offset:         72
        .size:           8
        .value_kind:     hidden_global_offset_y
      - .offset:         80
        .size:           8
        .value_kind:     hidden_global_offset_z
      - .offset:         88
        .size:           2
        .value_kind:     hidden_grid_dims
    .group_segment_fixed_size: 0
    .kernarg_segment_align: 8
    .kernarg_segment_size: 280
    .language:       OpenCL C
    .language_version:
      - 2
      - 0
    .max_flat_workgroup_size: 1024
    .name:           _Z27comm_manual_aosoa_constantsPK15HIP_vector_typeIfLj2EEPS0_S2_
    .private_segment_fixed_size: 0
    .sgpr_count:     90
    .sgpr_spill_count: 0
    .symbol:         _Z27comm_manual_aosoa_constantsPK15HIP_vector_typeIfLj2EEPS0_S2_.kd
    .uniform_work_group_size: 1
    .uses_dynamic_stack: false
    .vgpr_count:     101
    .vgpr_spill_count: 0
    .wavefront_size: 32
  - .args:
      - .actual_access:  read_only
        .address_space:  global
        .offset:         0
        .size:           8
        .value_kind:     global_buffer
      - .address_space:  global
        .offset:         8
        .size:           8
        .value_kind:     global_buffer
      - .actual_access:  read_only
        .address_space:  global
        .offset:         16
        .size:           8
        .value_kind:     global_buffer
      - .offset:         24
        .size:           4
        .value_kind:     hidden_block_count_x
      - .offset:         28
        .size:           4
        .value_kind:     hidden_block_count_y
      - .offset:         32
        .size:           4
        .value_kind:     hidden_block_count_z
      - .offset:         36
        .size:           2
        .value_kind:     hidden_group_size_x
      - .offset:         38
        .size:           2
        .value_kind:     hidden_group_size_y
      - .offset:         40
        .size:           2
        .value_kind:     hidden_group_size_z
      - .offset:         42
        .size:           2
        .value_kind:     hidden_remainder_x
      - .offset:         44
        .size:           2
        .value_kind:     hidden_remainder_y
      - .offset:         46
        .size:           2
        .value_kind:     hidden_remainder_z
      - .offset:         64
        .size:           8
        .value_kind:     hidden_global_offset_x
      - .offset:         72
        .size:           8
        .value_kind:     hidden_global_offset_y
      - .offset:         80
        .size:           8
        .value_kind:     hidden_global_offset_z
      - .offset:         88
        .size:           2
        .value_kind:     hidden_grid_dims
    .group_segment_fixed_size: 0
    .kernarg_segment_align: 8
    .kernarg_segment_size: 280
    .language:       OpenCL C
    .language_version:
      - 2
      - 0
    .max_flat_workgroup_size: 1024
    .name:           _Z32comm_manual_aosoa_constants_permPK15HIP_vector_typeIfLj2EEPS0_S2_
    .private_segment_fixed_size: 0
    .sgpr_count:     40
    .sgpr_spill_count: 0
    .symbol:         _Z32comm_manual_aosoa_constants_permPK15HIP_vector_typeIfLj2EEPS0_S2_.kd
    .uniform_work_group_size: 1
    .uses_dynamic_stack: false
    .vgpr_count:     98
    .vgpr_spill_count: 0
    .wavefront_size: 32
  - .args:
      - .actual_access:  read_only
        .address_space:  global
        .offset:         0
        .size:           8
        .value_kind:     global_buffer
      - .address_space:  global
        .offset:         8
        .size:           8
        .value_kind:     global_buffer
      - .actual_access:  read_only
        .address_space:  global
        .offset:         16
        .size:           8
        .value_kind:     global_buffer
      - .offset:         24
        .size:           4
        .value_kind:     hidden_block_count_x
      - .offset:         28
        .size:           4
        .value_kind:     hidden_block_count_y
      - .offset:         32
        .size:           4
        .value_kind:     hidden_block_count_z
      - .offset:         36
        .size:           2
        .value_kind:     hidden_group_size_x
      - .offset:         38
        .size:           2
        .value_kind:     hidden_group_size_y
      - .offset:         40
        .size:           2
        .value_kind:     hidden_group_size_z
      - .offset:         42
        .size:           2
        .value_kind:     hidden_remainder_x
      - .offset:         44
        .size:           2
        .value_kind:     hidden_remainder_y
      - .offset:         46
        .size:           2
        .value_kind:     hidden_remainder_z
      - .offset:         64
        .size:           8
        .value_kind:     hidden_global_offset_x
      - .offset:         72
        .size:           8
        .value_kind:     hidden_global_offset_y
      - .offset:         80
        .size:           8
        .value_kind:     hidden_global_offset_z
      - .offset:         88
        .size:           2
        .value_kind:     hidden_grid_dims
    .group_segment_fixed_size: 0
    .kernarg_segment_align: 8
    .kernarg_segment_size: 280
    .language:       OpenCL C
    .language_version:
      - 2
      - 0
    .max_flat_workgroup_size: 1024
    .name:           _Z41comm_manual_aosoa_constants_perm_prefetchPK15HIP_vector_typeIfLj2EEPS0_S2_
    .private_segment_fixed_size: 0
    .sgpr_count:     90
    .sgpr_spill_count: 0
    .symbol:         _Z41comm_manual_aosoa_constants_perm_prefetchPK15HIP_vector_typeIfLj2EEPS0_S2_.kd
    .uniform_work_group_size: 1
    .uses_dynamic_stack: false
    .vgpr_count:     101
    .vgpr_spill_count: 0
    .wavefront_size: 32
  - .args:
      - .actual_access:  read_only
        .address_space:  global
        .offset:         0
        .size:           8
        .value_kind:     global_buffer
      - .address_space:  global
        .offset:         8
        .size:           8
        .value_kind:     global_buffer
      - .actual_access:  read_only
        .address_space:  global
        .offset:         16
        .size:           8
        .value_kind:     global_buffer
      - .offset:         24
        .size:           4
        .value_kind:     by_value
      - .offset:         32
        .size:           4
        .value_kind:     hidden_block_count_x
      - .offset:         36
        .size:           4
        .value_kind:     hidden_block_count_y
      - .offset:         40
        .size:           4
        .value_kind:     hidden_block_count_z
      - .offset:         44
        .size:           2
        .value_kind:     hidden_group_size_x
      - .offset:         46
        .size:           2
        .value_kind:     hidden_group_size_y
      - .offset:         48
        .size:           2
        .value_kind:     hidden_group_size_z
      - .offset:         50
        .size:           2
        .value_kind:     hidden_remainder_x
      - .offset:         52
        .size:           2
        .value_kind:     hidden_remainder_y
      - .offset:         54
        .size:           2
        .value_kind:     hidden_remainder_z
      - .offset:         72
        .size:           8
        .value_kind:     hidden_global_offset_x
      - .offset:         80
        .size:           8
        .value_kind:     hidden_global_offset_y
      - .offset:         88
        .size:           8
        .value_kind:     hidden_global_offset_z
      - .offset:         96
        .size:           2
        .value_kind:     hidden_grid_dims
    .group_segment_fixed_size: 0
    .kernarg_segment_align: 8
    .kernarg_segment_size: 288
    .language:       OpenCL C
    .language_version:
      - 2
      - 0
    .max_flat_workgroup_size: 1024
    .name:           _Z24comm_manual_aosoa_directPK15HIP_vector_typeIfLj2EEPS0_S2_i
    .private_segment_fixed_size: 0
    .sgpr_count:     36
    .sgpr_spill_count: 0
    .symbol:         _Z24comm_manual_aosoa_directPK15HIP_vector_typeIfLj2EEPS0_S2_i.kd
    .uniform_work_group_size: 1
    .uses_dynamic_stack: false
    .vgpr_count:     38
    .vgpr_spill_count: 0
    .wavefront_size: 32
  - .args:
      - .actual_access:  read_only
        .address_space:  global
        .offset:         0
        .size:           8
        .value_kind:     global_buffer
      - .address_space:  global
        .offset:         8
        .size:           8
        .value_kind:     global_buffer
      - .actual_access:  read_only
        .address_space:  global
        .offset:         16
        .size:           8
        .value_kind:     global_buffer
      - .offset:         24
        .size:           4
        .value_kind:     hidden_block_count_x
      - .offset:         28
        .size:           4
        .value_kind:     hidden_block_count_y
      - .offset:         32
        .size:           4
        .value_kind:     hidden_block_count_z
      - .offset:         36
        .size:           2
        .value_kind:     hidden_group_size_x
      - .offset:         38
        .size:           2
        .value_kind:     hidden_group_size_y
      - .offset:         40
        .size:           2
        .value_kind:     hidden_group_size_z
      - .offset:         42
        .size:           2
        .value_kind:     hidden_remainder_x
      - .offset:         44
        .size:           2
        .value_kind:     hidden_remainder_y
      - .offset:         46
        .size:           2
        .value_kind:     hidden_remainder_z
      - .offset:         64
        .size:           8
        .value_kind:     hidden_global_offset_x
      - .offset:         72
        .size:           8
        .value_kind:     hidden_global_offset_y
      - .offset:         80
        .size:           8
        .value_kind:     hidden_global_offset_z
      - .offset:         88
        .size:           2
        .value_kind:     hidden_grid_dims
    .group_segment_fixed_size: 0
    .kernarg_segment_align: 8
    .kernarg_segment_size: 280
    .language:       OpenCL C
    .language_version:
      - 2
      - 0
    .max_flat_workgroup_size: 1024
    .name:           _Z34comm_manual_aosoa_constants_directPK15HIP_vector_typeIfLj2EEPS0_S2_
    .private_segment_fixed_size: 0
    .sgpr_count:     92
    .sgpr_spill_count: 0
    .symbol:         _Z34comm_manual_aosoa_constants_directPK15HIP_vector_typeIfLj2EEPS0_S2_.kd
    .uniform_work_group_size: 1
    .uses_dynamic_stack: false
    .vgpr_count:     102
    .vgpr_spill_count: 0
    .wavefront_size: 32
  - .args:
      - .actual_access:  read_only
        .address_space:  global
        .offset:         0
        .size:           8
        .value_kind:     global_buffer
      - .address_space:  global
        .offset:         8
        .size:           8
        .value_kind:     global_buffer
      - .actual_access:  read_only
        .address_space:  global
        .offset:         16
        .size:           8
        .value_kind:     global_buffer
      - .offset:         24
        .size:           4
        .value_kind:     hidden_block_count_x
      - .offset:         28
        .size:           4
        .value_kind:     hidden_block_count_y
      - .offset:         32
        .size:           4
        .value_kind:     hidden_block_count_z
      - .offset:         36
        .size:           2
        .value_kind:     hidden_group_size_x
      - .offset:         38
        .size:           2
        .value_kind:     hidden_group_size_y
      - .offset:         40
        .size:           2
        .value_kind:     hidden_group_size_z
      - .offset:         42
        .size:           2
        .value_kind:     hidden_remainder_x
      - .offset:         44
        .size:           2
        .value_kind:     hidden_remainder_y
      - .offset:         46
        .size:           2
        .value_kind:     hidden_remainder_z
      - .offset:         64
        .size:           8
        .value_kind:     hidden_global_offset_x
      - .offset:         72
        .size:           8
        .value_kind:     hidden_global_offset_y
      - .offset:         80
        .size:           8
        .value_kind:     hidden_global_offset_z
      - .offset:         88
        .size:           2
        .value_kind:     hidden_grid_dims
    .group_segment_fixed_size: 0
    .kernarg_segment_align: 8
    .kernarg_segment_size: 280
    .language:       OpenCL C
    .language_version:
      - 2
      - 0
    .max_flat_workgroup_size: 1024
    .name:           _Z43comm_manual_aosoa_constants_direct_prefetchPK15HIP_vector_typeIfLj2EEPS0_S2_
    .private_segment_fixed_size: 0
    .sgpr_count:     92
    .sgpr_spill_count: 0
    .symbol:         _Z43comm_manual_aosoa_constants_direct_prefetchPK15HIP_vector_typeIfLj2EEPS0_S2_.kd
    .uniform_work_group_size: 1
    .uses_dynamic_stack: false
    .vgpr_count:     102
    .vgpr_spill_count: 0
    .wavefront_size: 32
  - .args:
      - .actual_access:  read_only
        .address_space:  global
        .offset:         0
        .size:           8
        .value_kind:     global_buffer
      - .address_space:  global
        .offset:         8
        .size:           8
        .value_kind:     global_buffer
      - .actual_access:  read_only
        .address_space:  global
        .offset:         16
        .size:           8
        .value_kind:     global_buffer
      - .offset:         24
        .size:           4
        .value_kind:     hidden_block_count_x
      - .offset:         28
        .size:           4
        .value_kind:     hidden_block_count_y
      - .offset:         32
        .size:           4
        .value_kind:     hidden_block_count_z
      - .offset:         36
        .size:           2
        .value_kind:     hidden_group_size_x
      - .offset:         38
        .size:           2
        .value_kind:     hidden_group_size_y
      - .offset:         40
        .size:           2
        .value_kind:     hidden_group_size_z
      - .offset:         42
        .size:           2
        .value_kind:     hidden_remainder_x
      - .offset:         44
        .size:           2
        .value_kind:     hidden_remainder_y
      - .offset:         46
        .size:           2
        .value_kind:     hidden_remainder_z
      - .offset:         64
        .size:           8
        .value_kind:     hidden_global_offset_x
      - .offset:         72
        .size:           8
        .value_kind:     hidden_global_offset_y
      - .offset:         80
        .size:           8
        .value_kind:     hidden_global_offset_z
      - .offset:         88
        .size:           2
        .value_kind:     hidden_grid_dims
    .group_segment_fixed_size: 0
    .kernarg_segment_align: 8
    .kernarg_segment_size: 280
    .language:       OpenCL C
    .language_version:
      - 2
      - 0
    .max_flat_workgroup_size: 1024
    .name:           _Z39comm_manual_aosoa_constants_direct_permPK15HIP_vector_typeIfLj2EEPS0_S2_
    .private_segment_fixed_size: 0
    .sgpr_count:     40
    .sgpr_spill_count: 0
    .symbol:         _Z39comm_manual_aosoa_constants_direct_permPK15HIP_vector_typeIfLj2EEPS0_S2_.kd
    .uniform_work_group_size: 1
    .uses_dynamic_stack: false
    .vgpr_count:     98
    .vgpr_spill_count: 0
    .wavefront_size: 32
  - .args:
      - .actual_access:  read_only
        .address_space:  global
        .offset:         0
        .size:           8
        .value_kind:     global_buffer
      - .address_space:  global
        .offset:         8
        .size:           8
        .value_kind:     global_buffer
      - .actual_access:  read_only
        .address_space:  global
        .offset:         16
        .size:           8
        .value_kind:     global_buffer
      - .offset:         24
        .size:           4
        .value_kind:     by_value
    .group_segment_fixed_size: 1972
    .kernarg_segment_align: 8
    .kernarg_segment_size: 28
    .language:       OpenCL C
    .language_version:
      - 2
      - 0
    .max_flat_workgroup_size: 1024
    .name:           _Z16final_gpu_kernelPK15HIP_vector_typeIfLj2EEPS0_S2_i
    .private_segment_fixed_size: 0
    .sgpr_count:     11
    .sgpr_spill_count: 0
    .symbol:         _Z16final_gpu_kernelPK15HIP_vector_typeIfLj2EEPS0_S2_i.kd
    .uniform_work_group_size: 1
    .uses_dynamic_stack: false
    .vgpr_count:     72
    .vgpr_spill_count: 0
    .wavefront_size: 32
amdhsa.target:   amdgcn-amd-amdhsa--gfx1250
amdhsa.version:
  - 1
  - 2
...

	.end_amdgpu_metadata
